;; amdgpu-corpus repo=ROCm/rocFFT kind=compiled arch=gfx950 opt=O3
	.text
	.amdgcn_target "amdgcn-amd-amdhsa--gfx950"
	.amdhsa_code_object_version 6
	.protected	bluestein_single_back_len1536_dim1_sp_op_CI_CI ; -- Begin function bluestein_single_back_len1536_dim1_sp_op_CI_CI
	.globl	bluestein_single_back_len1536_dim1_sp_op_CI_CI
	.p2align	8
	.type	bluestein_single_back_len1536_dim1_sp_op_CI_CI,@function
bluestein_single_back_len1536_dim1_sp_op_CI_CI: ; @bluestein_single_back_len1536_dim1_sp_op_CI_CI
; %bb.0:
	s_load_dwordx4 s[4:7], s[0:1], 0x28
	s_mov_b32 s3, 0
	s_waitcnt lgkmcnt(0)
	v_mov_b32_e32 v2, s4
	v_mov_b32_e32 v3, s5
	v_cmp_lt_u64_e32 vcc, s[2:3], v[2:3]
	s_and_saveexec_b64 s[4:5], vcc
	s_cbranch_execz .LBB0_29
; %bb.1:
	s_load_dwordx2 s[12:13], s[0:1], 0x0
	s_load_dwordx2 s[14:15], s[0:1], 0x38
	v_mov_b64_e32 v[72:73], s[2:3]
	s_movk_i32 s2, 0x5f
	s_movk_i32 s4, 0x60
	v_mov_b32_e32 v71, 0
	v_cmp_lt_u32_e64 s[2:3], s2, v0
	v_cmp_gt_u32_e32 vcc, s4, v0
	v_lshlrev_b32_e32 v70, 3, v0
	s_and_saveexec_b64 s[16:17], vcc
	s_cbranch_execz .LBB0_3
; %bb.2:
	s_load_dwordx2 s[4:5], s[0:1], 0x18
	v_mov_b32_e32 v2, s6
	v_mov_b32_e32 v3, s7
	;; [unrolled: 1-line block ×3, first 2 shown]
	s_waitcnt lgkmcnt(0)
	v_lshl_add_u64 v[20:21], s[12:13], 0, v[70:71]
	s_load_dwordx4 s[8:11], s[4:5], 0x0
	v_or_b32_e32 v35, 0x180, v0
	v_or_b32_e32 v30, 0x1800, v70
	;; [unrolled: 1-line block ×3, first 2 shown]
	v_mov_b32_e32 v62, 0x600
	s_waitcnt lgkmcnt(0)
	v_mad_u64_u32 v[4:5], s[4:5], s10, v72, 0
	v_mad_u64_u32 v[6:7], s[4:5], s8, v0, 0
	v_mov_b32_e32 v8, v5
	v_mov_b32_e32 v10, v7
	v_mad_u64_u32 v[8:9], s[4:5], s11, v72, v[8:9]
	v_mov_b32_e32 v5, v8
	v_mad_u64_u32 v[8:9], s[4:5], s9, v0, v[10:11]
	v_mov_b32_e32 v7, v8
	v_lshl_add_u64 v[12:13], v[4:5], 3, v[2:3]
	v_lshl_add_u64 v[4:5], v[6:7], 3, v[12:13]
	v_mad_u64_u32 v[14:15], s[4:5], s8, v1, v[4:5]
	s_mul_i32 s6, s9, 0x300
	v_add_u32_e32 v15, s6, v15
	v_mad_u64_u32 v[16:17], s[4:5], s8, v1, v[14:15]
	v_add_u32_e32 v17, s6, v17
	v_mad_u64_u32 v[18:19], s[4:5], s8, v1, v[16:17]
	s_movk_i32 s4, 0x1000
	s_nop 0
	v_add_co_u32_e64 v24, s[4:5], s4, v20
	global_load_dwordx2 v[2:3], v[4:5], off
	s_nop 0
	v_addc_co_u32_e64 v25, s[4:5], 0, v21, s[4:5]
	v_mad_u64_u32 v[32:33], s[4:5], s8, v35, 0
	v_mov_b32_e32 v34, v33
	v_mad_u64_u32 v[34:35], s[4:5], s9, v35, v[34:35]
	v_mov_b32_e32 v33, v34
	global_load_dwordx2 v[6:7], v70, s[12:13] offset:768
	global_load_dwordx2 v[4:5], v70, s[12:13] offset:1536
	global_load_dwordx2 v[10:11], v[14:15], off
	global_load_dwordx2 v[8:9], v[16:17], off
	v_add_u32_e32 v19, s6, v19
	global_load_dwordx2 v[22:23], v70, s[12:13] offset:2304
	global_load_dwordx2 v[14:15], v70, s[12:13] offset:3072
	;; [unrolled: 1-line block ×3, first 2 shown]
	global_load_dwordx2 v[26:27], v30, s[12:13]
	global_load_dwordx2 v[28:29], v70, s[12:13]
	v_lshlrev_b32_e32 v30, 3, v59
	v_lshl_add_u64 v[32:33], v[32:33], 3, v[12:13]
	global_load_dwordx2 v[30:31], v30, s[12:13]
	s_mul_i32 s7, s9, 0x600
	global_load_dwordx2 v[34:35], v[32:33], off
	global_load_dwordx2 v[36:37], v[18:19], off
	v_mad_u64_u32 v[18:19], s[4:5], s8, v62, v[18:19]
	v_add_u32_e32 v19, s7, v19
	global_load_dwordx2 v[32:33], v[18:19], off
	v_mad_u64_u32 v[18:19], s[4:5], s8, v1, v[18:19]
	v_add_u32_e32 v19, s6, v19
	;; [unrolled: 3-line block ×4, first 2 shown]
	global_load_dwordx2 v[42:43], v[18:19], off
	global_load_dwordx2 v[44:45], v[24:25], off offset:512
	v_mad_u64_u32 v[18:19], s[4:5], s8, v1, v[18:19]
	v_add_u32_e32 v19, s6, v19
	global_load_dwordx2 v[46:47], v[24:25], off offset:1280
	global_load_dwordx2 v[48:49], v[18:19], off
	v_mad_u64_u32 v[18:19], s[4:5], s8, v1, v[18:19]
	v_add_u32_e32 v19, s6, v19
	global_load_dwordx2 v[50:51], v[18:19], off
	global_load_dwordx2 v[52:53], v[24:25], off offset:2816
	global_load_dwordx2 v[54:55], v[24:25], off offset:3584
	v_mad_u64_u32 v[18:19], s[4:5], s8, v1, v[18:19]
	s_movk_i32 s4, 0x2000
	s_nop 0
	v_add_co_u32_e64 v20, s[4:5], s4, v20
	v_add_u32_e32 v19, s6, v19
	s_nop 0
	v_addc_co_u32_e64 v21, s[4:5], 0, v21, s[4:5]
	v_mad_u64_u32 v[56:57], s[4:5], s8, v59, 0
	v_mov_b32_e32 v58, v57
	v_mad_u64_u32 v[58:59], s[4:5], s9, v59, v[58:59]
	global_load_dwordx2 v[24:25], v[18:19], off
	global_load_dwordx2 v[60:61], v[20:21], off offset:256
	v_mov_b32_e32 v57, v58
	v_mad_u64_u32 v[18:19], s[4:5], s8, v62, v[18:19]
	v_lshl_add_u64 v[12:13], v[56:57], 3, v[12:13]
	v_add_u32_e32 v19, s7, v19
	global_load_dwordx2 v[12:13], v[12:13], off
	s_nop 0
	global_load_dwordx2 v[56:57], v[18:19], off
	global_load_dwordx2 v[58:59], v[20:21], off offset:1792
	v_mad_u64_u32 v[18:19], s[4:5], s8, v1, v[18:19]
	v_add_u32_e32 v19, s6, v19
	global_load_dwordx2 v[62:63], v[18:19], off
	global_load_dwordx2 v[64:65], v[20:21], off offset:2560
	v_mad_u64_u32 v[18:19], s[4:5], s8, v1, v[18:19]
	v_add_u32_e32 v19, s6, v19
	global_load_dwordx2 v[66:67], v[18:19], off
	global_load_dwordx2 v[68:69], v[20:21], off offset:3328
	s_waitcnt vmcnt(22)
	v_mul_f32_e32 v18, v3, v29
	v_mul_f32_e32 v1, v2, v29
	v_fmac_f32_e32 v18, v2, v28
	v_fma_f32 v19, v3, v28, -v1
	v_mul_f32_e32 v2, v11, v7
	v_mul_f32_e32 v1, v10, v7
	v_fmac_f32_e32 v2, v10, v6
	v_fma_f32 v3, v11, v6, -v1
	ds_write2_b64 v70, v[18:19], v[2:3] offset1:96
	v_mul_f32_e32 v2, v9, v5
	v_mul_f32_e32 v1, v8, v5
	v_fmac_f32_e32 v2, v8, v4
	v_fma_f32 v3, v9, v4, -v1
	s_waitcnt vmcnt(19)
	v_mul_f32_e32 v4, v37, v23
	v_mul_f32_e32 v1, v36, v23
	v_fmac_f32_e32 v4, v36, v22
	v_fma_f32 v5, v37, v22, -v1
	v_add_u32_e32 v1, 0x400, v70
	ds_write2_b64 v1, v[2:3], v[4:5] offset0:64 offset1:160
	v_mul_f32_e32 v1, v34, v15
	v_mul_f32_e32 v2, v35, v15
	v_fma_f32 v3, v35, v14, -v1
	s_waitcnt vmcnt(18)
	v_mul_f32_e32 v4, v33, v17
	v_mul_f32_e32 v1, v32, v17
	v_fmac_f32_e32 v2, v34, v14
	v_fmac_f32_e32 v4, v32, v16
	v_fma_f32 v5, v33, v16, -v1
	v_add_u32_e32 v1, 0x800, v70
	ds_write2_b64 v1, v[2:3], v[4:5] offset0:128 offset1:224
	s_waitcnt vmcnt(14)
	v_mul_f32_e32 v1, v38, v45
	v_mul_f32_e32 v2, v39, v45
	v_fma_f32 v3, v39, v44, -v1
	s_waitcnt vmcnt(13)
	v_mul_f32_e32 v4, v41, v47
	v_mul_f32_e32 v1, v40, v47
	v_fmac_f32_e32 v2, v38, v44
	v_fmac_f32_e32 v4, v40, v46
	v_fma_f32 v5, v41, v46, -v1
	v_add_u32_e32 v1, 0x1000, v70
	ds_write2_b64 v1, v[2:3], v[4:5] offset0:64 offset1:160
	v_mul_f32_e32 v1, v42, v27
	v_mul_f32_e32 v2, v43, v27
	v_fma_f32 v3, v43, v26, -v1
	s_waitcnt vmcnt(10)
	v_mul_f32_e32 v4, v49, v53
	v_mul_f32_e32 v1, v48, v53
	v_fmac_f32_e32 v2, v42, v26
	v_fmac_f32_e32 v4, v48, v52
	v_fma_f32 v5, v49, v52, -v1
	v_add_u32_e32 v1, 0x1800, v70
	ds_write2_b64 v1, v[2:3], v[4:5] offset1:96
	s_waitcnt vmcnt(9)
	v_mul_f32_e32 v1, v50, v55
	v_mul_f32_e32 v2, v51, v55
	v_fma_f32 v3, v51, v54, -v1
	s_waitcnt vmcnt(7)
	v_mul_f32_e32 v4, v25, v61
	v_mul_f32_e32 v1, v24, v61
	v_fmac_f32_e32 v2, v50, v54
	v_fmac_f32_e32 v4, v24, v60
	v_fma_f32 v5, v25, v60, -v1
	v_add_u32_e32 v1, 0x1c00, v70
	ds_write2_b64 v1, v[2:3], v[4:5] offset0:64 offset1:160
	s_waitcnt vmcnt(6)
	v_mul_f32_e32 v1, v12, v31
	v_mul_f32_e32 v2, v13, v31
	v_fma_f32 v3, v13, v30, -v1
	s_waitcnt vmcnt(4)
	v_mul_f32_e32 v4, v57, v59
	v_mul_f32_e32 v1, v56, v59
	v_fmac_f32_e32 v2, v12, v30
	v_fmac_f32_e32 v4, v56, v58
	v_fma_f32 v5, v57, v58, -v1
	v_add_u32_e32 v1, 0x2000, v70
	ds_write2_b64 v1, v[2:3], v[4:5] offset0:128 offset1:224
	;; [unrolled: 12-line block ×3, first 2 shown]
.LBB0_3:
	s_or_b64 exec, exec, s[16:17]
	s_waitcnt lgkmcnt(0)
	s_barrier
	s_waitcnt lgkmcnt(0)
                                        ; implicit-def: $vgpr30
                                        ; implicit-def: $vgpr24
                                        ; implicit-def: $vgpr12
                                        ; implicit-def: $vgpr8
                                        ; implicit-def: $vgpr32
                                        ; implicit-def: $vgpr16
                                        ; implicit-def: $vgpr20
                                        ; implicit-def: $vgpr4
                                        ; implicit-def: $vgpr28
	s_and_saveexec_b64 s[4:5], vcc
	s_cbranch_execz .LBB0_5
; %bb.4:
	v_add_u32_e32 v1, 0x400, v70
	ds_read2_b64 v[2:5], v1 offset0:64 offset1:160
	v_add_u32_e32 v1, 0x800, v70
	ds_read2_b64 v[18:21], v1 offset0:128 offset1:224
	;; [unrolled: 2-line block ×5, first 2 shown]
	v_add_u32_e32 v1, 0x2400, v70
	ds_read2_b64 v[26:29], v70 offset1:96
	ds_read2_b64 v[22:25], v1 offset0:96 offset1:192
	ds_read_b64 v[32:33], v70 offset:6144
	ds_read_b64 v[30:31], v70 offset:11520
.LBB0_5:
	s_or_b64 exec, exec, s[4:5]
	v_mov_b32_e32 v35, 2.0
	s_waitcnt lgkmcnt(1)
	v_mov_b32_e32 v34, v32
	v_pk_add_f32 v[36:37], v[26:27], v[34:35] op_sel_hi:[0,1] neg_lo:[0,1] neg_hi:[0,1]
	v_pk_mul_f32 v[38:39], v[26:27], v[34:35] op_sel_hi:[0,1]
	v_pk_add_f32 v[12:13], v[18:19], v[12:13] neg_lo:[0,1] neg_hi:[0,1]
	v_mov_b32_e32 v37, v39
	v_pk_add_f32 v[32:33], v[26:27], v[32:33] neg_lo:[0,1] neg_hi:[0,1]
	v_add_f32_e32 v27, v27, v27
	v_fma_f32 v39, v18, 2.0, -v12
	v_add_f32_e32 v18, v29, v29
	v_pk_add_f32 v[22:23], v[20:21], v[22:23] neg_lo:[0,1] neg_hi:[0,1]
	v_mov_b32_e32 v26, v12
	v_pk_add_f32 v[24:25], v[14:15], v[24:25] neg_lo:[0,1] neg_hi:[0,1]
	v_mov_b32_e32 v34, v6
	v_pk_add_f32 v[6:7], v[28:29], v[6:7] neg_lo:[0,1] neg_hi:[0,1]
	v_fma_f32 v21, v21, 2.0, -v23
	v_pk_add_f32 v[42:43], v[26:27], v[32:33] op_sel:[0,1]
	v_pk_add_f32 v[26:27], v[26:27], v[32:33] op_sel:[0,1] neg_lo:[0,1] neg_hi:[0,1]
	v_mov_b32_e32 v32, v23
	v_mov_b32_e32 v23, v18
	v_fma_f32 v38, v14, 2.0, -v24
	v_fma_f32 v52, v15, 2.0, -v25
	v_pk_add_f32 v[14:15], v[28:29], v[34:35] op_sel_hi:[0,1] neg_lo:[0,1] neg_hi:[0,1]
	v_pk_mul_f32 v[34:35], v[28:29], v[34:35] op_sel_hi:[0,1]
	v_fma_f32 v29, v20, 2.0, -v22
	v_pk_add_f32 v[40:41], v[22:23], v[6:7] op_sel:[0,1]
	v_pk_add_f32 v[22:23], v[22:23], v[6:7] op_sel:[0,1] neg_lo:[0,1] neg_hi:[0,1]
	s_waitcnt lgkmcnt(0)
	v_pk_add_f32 v[30:31], v[16:17], v[30:31] neg_lo:[0,1] neg_hi:[0,1]
	v_fma_f32 v22, v7, 2.0, -v40
	v_pk_add_f32 v[6:7], v[4:5], v[10:11] neg_lo:[0,1] neg_hi:[0,1]
	v_mov_b32_e32 v15, v35
	v_add_f32_e32 v35, v5, v5
	v_fma_f32 v20, v16, 2.0, -v30
	v_mov_b32_e32 v34, v30
	v_fma_f32 v4, v4, 2.0, -v6
	v_fma_f32 v17, v17, 2.0, -v31
	v_mov_b32_e32 v16, 0x3f3504f3
	v_sub_f32_e32 v26, v4, v20
	v_pk_add_f32 v[44:45], v[34:35], v[6:7] op_sel:[0,1]
	v_pk_add_f32 v[34:35], v[34:35], v[6:7] op_sel:[0,1] neg_lo:[0,1] neg_hi:[0,1]
	s_mov_b32 s8, 0x3f3504f3
	v_fma_f32 v5, v4, 2.0, -v26
	v_mov_b32_e32 v4, v31
	v_pk_add_f32 v[46:47], v[34:35], v[16:17] neg_lo:[0,1] neg_hi:[0,1]
	v_pk_add_f32 v[10:11], v[6:7], v[4:5] neg_lo:[0,1] neg_hi:[0,1]
	v_fma_f32 v4, v35, 2.0, -v47
	v_pk_mul_f32 v[34:35], v[44:45], s[8:9]
	v_fma_f32 v12, v33, 2.0, -v42
	v_mov_b32_e32 v33, v14
	v_mov_b32_e32 v20, v34
	;; [unrolled: 1-line block ×3, first 2 shown]
	v_pk_add_f32 v[32:33], v[14:15], v[32:33] neg_lo:[0,1] neg_hi:[0,1]
	v_pk_add_f32 v[20:21], v[22:23], v[20:21] neg_lo:[0,1] neg_hi:[0,1]
	v_pk_fma_f32 v[6:7], v[6:7], 2.0, v[10:11] op_sel_hi:[1,0,1] neg_lo:[0,0,1] neg_hi:[0,0,1]
	v_fma_f32 v18, v14, 2.0, -v32
	v_mul_f32_e32 v28, 0x3f3504f3, v10
	v_fma_f32 v14, v23, 2.0, -v21
	v_pk_mul_f32 v[6:7], v[6:7], s[8:9] op_sel_hi:[1,0]
	v_pk_add_f32 v[30:31], v[32:33], v[28:29]
	v_mov_b32_e32 v35, v47
	v_pk_add_f32 v[46:47], v[32:33], v[28:29] neg_lo:[0,1] neg_hi:[0,1]
	v_pk_fma_f32 v[44:45], v[44:45], s[8:9], v[40:41]
	v_sub_f32_e32 v11, v14, v4
	v_sub_f32_e32 v4, v22, v7
	v_mov_b32_e32 v31, v47
	v_mov_b32_e32 v45, v21
	v_add_f32_e32 v4, v6, v4
	v_mov_b32_e32 v29, v26
	v_fma_f32 v54, v22, 2.0, -v4
	v_pk_add_f32 v[22:23], v[30:31], v[34:35] neg_lo:[0,1] neg_hi:[0,1]
	v_pk_add_f32 v[28:29], v[28:29], v[44:45]
	v_add_f32_e32 v15, v33, v33
	v_fma_f32 v20, v14, 2.0, -v11
	v_sub_f32_e32 v14, v18, v6
	v_fma_f32 v6, v47, 2.0, -v23
	v_fma_f32 v10, v21, 2.0, -v29
	v_mov_b32_e32 v46, v7
	v_pk_add_f32 v[8:9], v[2:3], v[8:9] neg_lo:[0,1] neg_hi:[0,1]
	v_mul_f32_e32 v33, 0x3f3504f3, v6
	v_mul_f32_e32 v31, 0x3f3504f3, v10
	v_mul_f32_e32 v6, 0x3ec3ef15, v4
	v_mul_f32_e32 v10, 0x3f6c835e, v4
	v_pk_add_f32 v[14:15], v[14:15], v[46:47] neg_lo:[0,1] neg_hi:[0,1]
	v_mov_b32_e32 v4, 0x3f6c835e
	v_fma_f32 v2, v2, 2.0, -v8
	v_fma_f32 v1, v19, 2.0, -v13
	v_add_f32_e32 v19, v3, v3
	s_mov_b32 s6, 0x3f6c835e
	v_pk_add_f32 v[4:5], v[14:15], v[4:5] neg_lo:[0,1] neg_hi:[0,1]
	v_sub_f32_e32 v3, v2, v38
	v_pk_mul_f32 v[34:35], v[14:15], s[6:7]
	v_fma_f32 v4, v15, 2.0, -v5
	v_fma_f32 v15, v2, 2.0, -v3
	v_mov_b32_e32 v2, v25
	v_fma_f32 v55, v18, 2.0, -v14
	v_mov_b32_e32 v18, v24
	v_pk_add_f32 v[24:25], v[8:9], v[2:3] neg_lo:[0,1] neg_hi:[0,1]
	v_fma_f32 v30, v40, 2.0, -v28
	v_mov_b32_e32 v40, v13
	v_mov_b32_e32 v41, v36
	v_mul_f32_e32 v2, 0x3f3504f3, v24
	v_pk_add_f32 v[40:41], v[36:37], v[40:41] neg_lo:[0,1] neg_hi:[0,1]
	v_mov_b32_e32 v17, v52
	v_mov_b32_e32 v38, v2
	v_pk_add_f32 v[46:47], v[18:19], v[8:9] op_sel:[0,1]
	v_pk_add_f32 v[18:19], v[18:19], v[8:9] op_sel:[0,1] neg_lo:[0,1] neg_hi:[0,1]
	v_pk_add_f32 v[44:45], v[40:41], v[2:3]
	v_pk_add_f32 v[38:39], v[40:41], v[38:39] neg_lo:[0,1] neg_hi:[0,1]
	v_pk_mul_f32 v[52:53], v[46:47], s[8:9]
	v_pk_add_f32 v[16:17], v[18:19], v[16:17] neg_lo:[0,1] neg_hi:[0,1]
	v_mov_b32_e32 v25, v46
	v_mov_b32_e32 v45, v39
	;; [unrolled: 1-line block ×3, first 2 shown]
	v_pk_fma_f32 v[8:9], v[8:9], 2.0, v[24:25] op_sel_hi:[1,0,1] neg_lo:[0,0,1] neg_hi:[0,0,1]
	v_fma_f32 v26, v36, 2.0, -v40
	v_fma_f32 v7, v19, 2.0, -v17
	v_pk_mul_f32 v[8:9], v[8:9], s[8:9] op_sel_hi:[1,0]
	v_pk_add_f32 v[16:17], v[44:45], v[52:53] neg_lo:[0,1] neg_hi:[0,1]
	v_mov_b32_e32 v53, v1
	v_mov_b32_e32 v35, v5
	v_pk_fma_f32 v[18:19], v[46:47], s[8:9], v[42:43]
	v_pk_add_f32 v[24:25], v[26:27], v[52:53] neg_lo:[0,1] neg_hi:[0,1]
	v_sub_f32_e32 v5, v12, v9
	v_add_f32_e32 v37, v41, v41
	v_sub_f32_e32 v36, v26, v8
	v_mov_b32_e32 v19, v25
	v_fma_f32 v1, v27, 2.0, -v25
	v_add_f32_e32 v46, v8, v5
	v_mov_b32_e32 v13, v40
	v_mov_b32_e32 v47, v16
	;; [unrolled: 1-line block ×3, first 2 shown]
	v_fma_f32 v21, v32, 2.0, -v22
	v_pk_add_f32 v[18:19], v[2:3], v[18:19]
	v_pk_fma_f32 v[2:3], v[12:13], 2.0, v[46:47] op_sel_hi:[1,0,1] neg_lo:[0,0,1] neg_hi:[0,0,1]
	v_mov_b32_e32 v47, v1
	v_pk_add_f32 v[36:37], v[36:37], v[38:39] neg_lo:[0,1] neg_hi:[0,1]
	v_mul_f32_e32 v14, 0x3ec3ef15, v14
	v_fmamk_f32 v62, v54, 0xbf6c835e, v2
	v_mov_b32_e32 v24, v39
	v_mov_b32_e32 v12, v17
	;; [unrolled: 1-line block ×3, first 2 shown]
	v_fmamk_f32 v63, v21, 0xbec3ef15, v3
	v_pk_add_f32 v[40:41], v[46:47], v[6:7]
	v_pk_add_f32 v[52:53], v[46:47], v[6:7] neg_lo:[0,1] neg_hi:[0,1]
	v_mov_b32_e32 v27, v42
	v_mov_b32_e32 v6, v36
	;; [unrolled: 1-line block ×3, first 2 shown]
	s_mov_b32 s4, 0x3ec3ef15
	s_mov_b32 s5, s8
	v_pk_fma_f32 v[24:25], v[24:25], 2.0, v[12:13] op_sel_hi:[1,0,1] neg_lo:[0,0,1] neg_hi:[0,0,1]
	v_fmac_f32_e32 v63, 0xbf6c835e, v30
	v_fmac_f32_e32 v62, 0x3ec3ef15, v55
	v_pk_fma_f32 v[26:27], v[26:27], 2.0, v[6:7] op_sel_hi:[1,0,1] neg_lo:[0,0,1] neg_hi:[0,0,1]
	v_pk_add_f32 v[8:9], v[36:37], v[14:15] neg_lo:[0,1] neg_hi:[0,1]
	v_pk_mul_f32 v[48:49], v[22:23], s[4:5]
	s_mov_b32 s7, s8
	v_pk_fma_f32 v[66:67], v[2:3], 2.0, v[62:63] op_sel_hi:[1,0,1] neg_lo:[0,0,1] neg_hi:[0,0,1]
	v_add_f32_e32 v2, v37, v37
	v_fmamk_f32 v39, v30, 0xbec3ef15, v27
	v_mov_b32_e32 v3, v25
	v_mov_b32_e32 v30, v9
	v_pk_mul_f32 v[50:51], v[28:29], s[6:7]
	v_mul_f32_e32 v48, 0x3f6c835e, v22
	v_mov_b32_e32 v41, v53
	v_mov_b32_e32 v5, v33
	v_pk_add_f32 v[2:3], v[2:3], v[30:31] neg_lo:[0,1] neg_hi:[0,1]
	v_mul_f32_e32 v50, 0x3ec3ef15, v28
	v_add_f32_e32 v44, v1, v1
	v_mov_b32_e32 v45, v24
	v_mov_b32_e32 v32, v53
	v_pk_add_f32 v[40:41], v[34:35], v[40:41]
	v_pk_add_f32 v[34:35], v[2:3], v[4:5] neg_lo:[0,1] neg_hi:[0,1]
	v_pk_add_f32 v[4:5], v[48:49], v[16:17]
	v_pk_add_f32 v[44:45], v[44:45], v[32:33] neg_lo:[0,1] neg_hi:[0,1]
	v_fmac_f32_e32 v39, 0x3f6c835e, v21
	v_pk_add_f32 v[6:7], v[36:37], v[14:15]
	v_mov_b32_e32 v21, v31
	v_pk_add_f32 v[68:69], v[4:5], v[50:51] neg_lo:[0,1] neg_hi:[0,1]
	v_pk_fma_f32 v[4:5], v[28:29], s[6:7], v[18:19]
	v_mov_b32_e32 v7, v9
	v_pk_add_f32 v[64:65], v[44:45], v[20:21] neg_lo:[0,1] neg_hi:[0,1]
	v_pk_fma_f32 v[76:77], v[22:23], s[4:5], v[4:5]
	v_mov_b32_e32 v52, v9
	v_mov_b32_e32 v8, v2
	v_mov_b32_e32 v9, v44
	v_pk_add_f32 v[30:31], v[6:7], v[10:11] neg_lo:[0,1] neg_hi:[0,1]
	v_fmamk_f32 v38, v55, 0xbf6c835e, v26
	v_pk_add_f32 v[2:3], v[2:3], v[32:33]
	v_mov_b32_e32 v35, v64
	v_mov_b32_e32 v10, v69
	;; [unrolled: 1-line block ×5, first 2 shown]
	v_fmac_f32_e32 v38, 0xbec3ef15, v54
	v_pk_fma_f32 v[54:55], v[8:9], 2.0, v[34:35] op_sel_hi:[1,0,1] neg_lo:[0,0,1] neg_hi:[0,0,1]
	v_mov_b32_e32 v2, v65
	v_mov_b32_e32 v37, v46
	;; [unrolled: 1-line block ×5, first 2 shown]
	v_pk_fma_f32 v[58:59], v[12:13], 2.0, v[10:11] op_sel_hi:[1,0,1] neg_lo:[0,0,1] neg_hi:[0,0,1]
	v_mov_b32_e32 v12, v68
	v_mov_b32_e32 v13, v76
	v_pk_fma_f32 v[42:43], v[52:53], 2.0, v[6:7] op_sel_hi:[1,0,1] neg_lo:[0,0,1] neg_hi:[0,0,1]
	v_pk_fma_f32 v[46:47], v[24:25], 2.0, v[2:3] op_sel_hi:[1,0,1] neg_lo:[0,0,1] neg_hi:[0,0,1]
	;; [unrolled: 1-line block ×5, first 2 shown]
	v_lshlrev_b32_e32 v1, 7, v0
	s_barrier
	s_and_saveexec_b64 s[4:5], vcc
	s_cbranch_execz .LBB0_7
; %bb.6:
	v_mov_b32_e32 v56, v52
	v_mov_b32_e32 v57, v66
	;; [unrolled: 1-line block ×8, first 2 shown]
	ds_write_b128 v1, v[54:57]
	ds_write_b128 v1, v[46:49] offset:16
	ds_write_b128 v1, v[42:45] offset:32
	;; [unrolled: 1-line block ×7, first 2 shown]
.LBB0_7:
	s_or_b64 exec, exec, s[4:5]
	s_load_dwordx2 s[8:9], s[0:1], 0x8
	s_waitcnt lgkmcnt(0)
	s_barrier
	s_and_saveexec_b64 s[4:5], s[2:3]
	s_xor_b64 s[4:5], exec, s[4:5]
; %bb.8:
	v_mov_b32_e32 v35, v3
; %bb.9:
	s_or_saveexec_b64 s[4:5], s[4:5]
	s_load_dwordx2 s[0:1], s[0:1], 0x20
	s_xor_b64 exec, exec, s[4:5]
	s_cbranch_execz .LBB0_11
; %bb.10:
	v_add_u32_e32 v2, 0x400, v70
	ds_read2_b64 v[46:49], v2 offset0:64 offset1:160
	v_add_u32_e32 v2, 0x800, v70
	ds_read2_b64 v[42:45], v2 offset0:128 offset1:224
	;; [unrolled: 2-line block ×4, first 2 shown]
	v_add_u32_e32 v2, 0x2000, v70
	v_add_u32_e32 v6, 0x2400, v70
	ds_read2_b64 v[50:53], v70 offset1:96
	ds_read_b64 v[34:35], v70 offset:6144
	ds_read2_b64 v[2:5], v2 offset0:32 offset1:128
	ds_read2_b64 v[30:33], v6 offset0:96 offset1:192
	ds_read_b64 v[68:69], v70 offset:11520
	s_waitcnt lgkmcnt(0)
	v_mov_b32_e32 v65, v40
	v_mov_b32_e32 v67, v48
	;; [unrolled: 1-line block ×15, first 2 shown]
	v_mov_b64_e32 v[54:55], v[50:51]
.LBB0_11:
	s_or_b64 exec, exec, s[4:5]
	v_and_b32_e32 v73, 15, v0
	s_movk_i32 s4, 0x78
	v_mov_b64_e32 v[2:3], s[8:9]
	v_mad_u64_u32 v[32:33], s[4:5], v73, s4, v[2:3]
	global_load_dwordx4 v[2:5], v[32:33], off
	global_load_dwordx4 v[6:9], v[32:33], off offset:16
	global_load_dwordx4 v[10:13], v[32:33], off offset:64
	global_load_dwordx4 v[14:17], v[32:33], off offset:80
	global_load_dwordx4 v[18:21], v[32:33], off offset:32
	global_load_dwordx4 v[22:25], v[32:33], off offset:48
	global_load_dwordx4 v[26:29], v[32:33], off offset:96
	global_load_dwordx2 v[74:75], v[32:33], off offset:112
	v_mov_b32_e32 v50, v31
	v_mov_b32_e32 v32, v43
	;; [unrolled: 1-line block ×3, first 2 shown]
	v_add_f32_e32 v33, v54, v54
	v_mov_b32_e32 v36, v45
	s_mov_b32 s4, 0x3f6c835e
	s_mov_b32 s5, 0x3f3504f3
	;; [unrolled: 1-line block ×4, first 2 shown]
	s_waitcnt lgkmcnt(0)
	s_barrier
	s_waitcnt vmcnt(7)
	v_pk_mul_f32 v[80:81], v[46:47], v[4:5]
	v_mul_f32_e32 v99, v47, v4
	s_waitcnt vmcnt(5)
	v_mov_b32_e32 v91, v13
	v_pk_mul_f32 v[84:85], v[42:43], v[8:9]
	s_waitcnt vmcnt(3)
	v_mul_f32_e32 v102, v59, v20
	s_waitcnt vmcnt(2)
	v_mov_b32_e32 v90, v25
	v_pk_mul_f32 v[92:93], v[58:59], v[20:21]
	v_fmac_f32_e32 v102, v58, v21
	v_pk_mul_f32 v[58:59], v[40:41], v[16:17]
	v_mov_b32_e32 v88, v24
	v_mov_b32_e32 v89, v12
	s_waitcnt vmcnt(1)
	v_mul_f32_e32 v37, v69, v28
	s_waitcnt vmcnt(0)
	v_mul_f32_e32 v49, v68, v74
	v_mul_f32_e32 v105, v76, v74
	v_mov_b32_e32 v58, v81
	v_pk_mul_f32 v[90:91], v[34:35], v[90:91]
	v_mov_b32_e32 v56, v3
	v_mov_b32_e32 v78, v3
	;; [unrolled: 1-line block ×5, first 2 shown]
	v_mul_f32_e32 v104, v77, v28
	v_fmac_f32_e32 v99, v46, v5
	v_mov_b32_e32 v98, v85
	v_fma_f32 v106, -v77, v29, v37
	v_fma_f32 v107, -v76, v75, v49
	v_fmac_f32_e32 v105, v68, v75
	v_mov_b32_e32 v68, v59
	v_pk_fma_f32 v[46:47], v[46:47], v[4:5], v[58:59] neg_lo:[0,0,1] neg_hi:[0,0,1]
	v_pk_fma_f32 v[58:59], v[64:65], v[88:89], v[90:91] neg_lo:[0,0,1] neg_hi:[0,0,1]
	v_pk_fma_f32 v[76:77], v[64:65], v[24:25], v[90:91]
	v_mul_f32_e32 v71, v53, v6
	v_mov_b32_e32 v82, v11
	v_mov_b32_e32 v83, v15
	v_mul_f32_e32 v103, v61, v22
	v_mov_b32_e32 v96, v2
	v_mov_b32_e32 v97, v6
	v_pk_mul_f32 v[56:57], v[66:67], v[56:57]
	v_pk_mul_f32 v[78:79], v[52:53], v[78:79]
	;; [unrolled: 1-line block ×4, first 2 shown]
	v_pk_fma_f32 v[42:43], v[42:43], v[8:9], v[98:99] neg_lo:[0,0,1] neg_hi:[0,0,1]
	v_pk_fma_f32 v[50:51], v[50:51], v[16:17], v[68:69] neg_lo:[0,0,1] neg_hi:[0,0,1]
	v_mov_b32_e32 v77, v59
	v_mov_b32_e32 v49, v46
	v_mul_f32_e32 v101, v39, v14
	v_pk_mul_f32 v[86:87], v[44:45], v[18:19]
	v_pk_mul_f32 v[94:95], v[60:61], v[22:23]
	v_fmac_f32_e32 v103, v60, v23
	v_mov_b32_e32 v60, v10
	v_mov_b32_e32 v61, v14
	v_pk_mul_f32 v[82:83], v[38:39], v[82:83]
	v_fmac_f32_e32 v71, v67, v7
	v_pk_fma_f32 v[52:53], v[52:53], v[2:3], v[56:57] neg_lo:[0,0,1] neg_hi:[0,0,1]
	v_pk_fma_f32 v[38:39], v[38:39], v[10:11], v[80:81] neg_lo:[0,0,1] neg_hi:[0,0,1]
	v_pk_fma_f32 v[56:57], v[32:33], v[8:9], v[84:85]
	v_pk_fma_f32 v[80:81], v[66:67], v[96:97], v[78:79]
	v_pk_fma_f32 v[66:67], v[66:67], v[96:97], v[78:79] neg_lo:[0,0,1] neg_hi:[0,0,1]
	v_pk_add_f32 v[50:51], v[42:43], v[50:51] neg_lo:[0,1] neg_hi:[0,1]
	v_pk_add_f32 v[48:49], v[48:49], v[76:77] neg_lo:[0,1] neg_hi:[0,1]
	v_mov_b32_e32 v86, v19
	v_mov_b32_e32 v57, v54
	v_add_f32_e32 v51, v46, v46
	v_fma_f32 v66, v55, 2.0, -v48
	v_pk_fma_f32 v[46:47], v[62:63], v[60:61], v[82:83] neg_lo:[0,0,1] neg_hi:[0,0,1]
	v_pk_fma_f32 v[54:55], v[62:63], v[10:11], v[82:83]
	v_mov_b32_e32 v39, 2.0
	v_mov_b32_e32 v32, v27
	v_mov_b32_e32 v100, v87
	v_pk_mul_f32 v[86:87], v[44:45], v[86:87]
	v_mov_b32_e32 v55, v47
	v_pk_add_f32 v[46:47], v[52:53], v[38:39] op_sel_hi:[0,1] neg_lo:[0,1] neg_hi:[0,1]
	v_pk_mul_f32 v[38:39], v[52:53], v[38:39] op_sel_hi:[0,1]
	v_pk_mul_f32 v[52:53], v[30:31], v[32:33]
	v_pk_fma_f32 v[36:37], v[36:37], v[18:19], v[86:87]
	v_pk_fma_f32 v[52:53], v[40:41], v[26:27], v[52:53]
	v_fmac_f32_e32 v101, v63, v15
	v_mov_b32_e32 v47, v39
	v_pk_mul_f32 v[38:39], v[40:41], v[32:33]
	v_mov_b32_e32 v81, v67
	v_pk_add_f32 v[52:53], v[36:37], v[52:53] neg_lo:[0,1] neg_hi:[0,1]
	v_pk_fma_f32 v[44:45], v[44:45], v[18:19], v[100:101] neg_lo:[0,0,1] neg_hi:[0,0,1]
	v_pk_fma_f32 v[38:39], v[30:31], v[26:27], v[38:39] neg_lo:[0,0,1] neg_hi:[0,0,1]
	v_fma_f32 v30, v36, 2.0, -v52
	v_pk_add_f32 v[36:37], v[80:81], v[54:55] neg_lo:[0,1] neg_hi:[0,1]
	v_sub_f32_e32 v32, v103, v105
	v_pk_add_f32 v[38:39], v[44:45], v[38:39] neg_lo:[0,1] neg_hi:[0,1]
	v_sub_f32_e32 v43, v94, v95
	v_fma_f32 v40, v103, 2.0, -v32
	v_sub_f32_e32 v32, v37, v32
	v_add_f32_e32 v39, v67, v67
	v_fma_f32 v45, v44, 2.0, -v38
	v_mul_f32_e32 v44, 0x3f3504f3, v32
	v_fma_f32 v68, v37, 2.0, -v32
	v_sub_f32_e32 v76, v71, v101
	v_sub_f32_e32 v32, v43, v107
	v_mov_b32_e32 v53, v46
	v_pk_add_f32 v[54:55], v[38:39], v[36:37]
	v_pk_add_f32 v[38:39], v[38:39], v[36:37] neg_lo:[0,1] neg_hi:[0,1]
	v_fma_f32 v71, v71, 2.0, -v76
	v_add_f32_e32 v77, v76, v32
	v_pk_add_f32 v[52:53], v[46:47], v[52:53] neg_lo:[0,1] neg_hi:[0,1]
	v_fmac_f32_e32 v104, v69, v29
	v_fma_f32 v82, v80, 2.0, -v36
	v_fma_f32 v69, v36, 2.0, -v54
	v_sub_f32_e32 v83, v71, v40
	v_fma_f32 v37, v43, 2.0, -v32
	v_mul_f32_e32 v36, 0x3f3504f3, v77
	v_pk_add_f32 v[58:59], v[52:53], v[44:45]
	v_pk_add_f32 v[60:61], v[52:53], v[44:45] neg_lo:[0,1] neg_hi:[0,1]
	v_mov_b32_e32 v38, v54
	v_mov_b32_e32 v59, v61
	v_pk_add_f32 v[54:55], v[54:55], v[36:37]
	v_pk_add_f32 v[62:63], v[38:39], v[36:37] neg_lo:[0,1] neg_hi:[0,1]
	v_mov_b32_e32 v37, v83
	v_pk_add_f32 v[58:59], v[58:59], v[36:37] neg_lo:[0,1] neg_hi:[0,1]
	v_sub_f32_e32 v84, v82, v30
	v_mul_f32_e32 v36, v35, v12
	v_mov_b32_e32 v35, v34
	v_mov_b32_e32 v34, v41
	;; [unrolled: 1-line block ×6, first 2 shown]
	v_pk_mul_f32 v[30:31], v[30:31], v[40:41]
	v_mov_b32_e32 v40, v16
	v_mov_b32_e32 v41, v24
	v_pk_fma_f32 v[40:41], v[34:35], v[40:41], v[30:31] neg_lo:[0,0,1] neg_hi:[0,0,1]
	v_pk_fma_f32 v[30:31], v[34:35], v[16:17], v[30:31]
	v_sub_f32_e32 v62, v102, v104
	v_mov_b32_e32 v31, v41
	v_pk_add_f32 v[34:35], v[56:57], v[30:31] neg_lo:[0,1] neg_hi:[0,1]
	v_sub_f32_e32 v78, v49, v62
	v_mov_b32_e32 v32, v35
	v_fma_f32 v31, v42, 2.0, -v50
	v_mul_f32_e32 v30, 0x3f3504f3, v78
	v_pk_add_f32 v[40:41], v[32:33], v[34:35] neg_lo:[0,1] neg_hi:[0,1]
	v_fmac_f32_e32 v36, v65, v13
	v_sub_f32_e32 v47, v92, v93
	v_pk_add_f32 v[32:33], v[40:41], v[30:31] neg_lo:[0,1] neg_hi:[0,1]
	v_mov_b32_e32 v55, v63
	v_mov_b32_e32 v45, v84
	v_sub_f32_e32 v36, v99, v36
	v_sub_f32_e32 v32, v47, v106
	v_pk_add_f32 v[44:45], v[44:45], v[54:55]
	v_fma_f32 v54, v56, 2.0, -v34
	v_add_f32_e32 v79, v36, v32
	v_pk_add_f32 v[56:57], v[50:51], v[48:49]
	v_pk_add_f32 v[50:51], v[50:51], v[48:49] neg_lo:[0,1] neg_hi:[0,1]
	v_pk_add_f32 v[42:43], v[40:41], v[30:31]
	v_sub_f32_e32 v31, v66, v54
	v_fma_f32 v55, v47, 2.0, -v32
	v_mul_f32_e32 v54, 0x3f3504f3, v79
	v_mov_b32_e32 v50, v56
	v_fma_f32 v37, v53, 2.0, -v61
	v_mov_b32_e32 v53, v61
	v_pk_add_f32 v[60:61], v[56:57], v[54:55]
	v_pk_add_f32 v[64:65], v[50:51], v[54:55] neg_lo:[0,1] neg_hi:[0,1]
	v_fma_f32 v63, v39, 2.0, -v63
	v_mov_b32_e32 v61, v65
	v_mov_b32_e32 v39, v84
	v_fma_f32 v47, v51, 2.0, -v65
	v_pk_add_f32 v[60:61], v[30:31], v[60:61]
	v_mov_b32_e32 v51, v31
	v_pk_fma_f32 v[38:39], v[38:39], 2.0, v[44:45] op_sel_hi:[1,0,1] neg_lo:[0,0,1] neg_hi:[0,0,1]
	v_fma_f32 v85, v66, 2.0, -v31
	v_mov_b32_e32 v43, v33
	v_add_f32_e32 v57, v41, v41
	v_mov_b32_e32 v41, v33
	v_pk_fma_f32 v[32:33], v[52:53], 2.0, v[58:59] op_sel_hi:[1,0,1] neg_lo:[0,0,1] neg_hi:[0,0,1]
	v_pk_mul_f32 v[64:65], v[38:39], s[6:7]
	v_pk_fma_f32 v[30:31], v[50:51], 2.0, v[60:61] op_sel_hi:[1,0,1] neg_lo:[0,0,1] neg_hi:[0,0,1]
	v_fma_f32 v46, v46, 2.0, -v52
	v_pk_mul_f32 v[52:53], v[32:33], s[4:5]
	v_mul_f32_e32 v64, 0x3f6c835e, v38
	v_pk_fma_f32 v[38:39], v[38:39], s[6:7], v[30:31] neg_lo:[1,0,0] neg_hi:[1,0,0]
	v_mul_f32_e32 v52, 0x3ec3ef15, v32
	v_pk_fma_f32 v[66:67], v[32:33], s[4:5], v[38:39]
	v_fma_f32 v32, v102, 2.0, -v62
	v_fma_f32 v86, v99, 2.0, -v36
	v_sub_f32_e32 v87, v86, v32
	v_mov_b32_e32 v55, v87
	v_pk_add_f32 v[38:39], v[42:43], v[54:55] neg_lo:[0,1] neg_hi:[0,1]
	v_mov_b32_e32 v34, v35
	v_mov_b32_e32 v35, v48
	v_pk_fma_f32 v[32:33], v[40:41], 2.0, v[38:39] op_sel_hi:[1,0,1] neg_lo:[0,0,1] neg_hi:[0,0,1]
	v_mov_b32_e32 v41, v56
	v_pk_fma_f32 v[40:41], v[34:35], 2.0, v[40:41] op_sel_hi:[1,0,1] neg_lo:[0,0,1] neg_hi:[0,0,1]
	v_fma_f32 v34, v36, 2.0, -v79
	v_fma_f32 v50, v76, 2.0, -v77
	;; [unrolled: 1-line block ×3, first 2 shown]
	v_fmamk_f32 v35, v34, 0xbf3504f3, v41
	v_fmamk_f32 v88, v50, 0xbf3504f3, v69
	v_fmac_f32_e32 v35, 0x3f3504f3, v49
	v_fmac_f32_e32 v88, 0x3f3504f3, v68
	v_mul_f32_e32 v62, 0x3ec3ef15, v88
	v_mov_b32_e32 v36, v35
	v_fmamk_f32 v56, v49, 0xbf3504f3, v40
	v_pk_add_f32 v[48:49], v[36:37], v[62:63] neg_lo:[0,1] neg_hi:[0,1]
	v_add_f32_e32 v79, v37, v37
	v_fma_f32 v78, v69, 2.0, -v88
	v_mov_b32_e32 v36, 0x3ec3ef15
	v_mov_b32_e32 v37, v49
	v_mul_f32_e32 v42, 0x3f3504f3, v34
	v_pk_mul_f32 v[80:81], v[78:79], v[36:37]
	v_pk_add_f32 v[36:37], v[78:79], v[48:49] neg_lo:[0,1] neg_hi:[0,1]
	v_fmamk_f32 v79, v68, 0xbf3504f3, v46
	v_pk_add_f32 v[42:43], v[56:57], v[42:43] neg_lo:[0,1] neg_hi:[0,1]
	v_mov_b32_e32 v34, v35
	v_fmac_f32_e32 v79, 0xbf3504f3, v50
	v_pk_add_f32 v[76:77], v[34:35], v[62:63]
	v_fma_f32 v89, v46, 2.0, -v79
	v_mul_f32_e32 v46, 0x3ec3ef15, v79
	v_mov_b32_e32 v34, v42
	v_mov_b32_e32 v81, v37
	v_pk_fma_f32 v[50:51], v[40:41], 2.0, v[34:35] op_sel_hi:[1,0,1] neg_lo:[0,0,1] neg_hi:[0,0,1]
	v_pk_add_f32 v[36:37], v[42:43], v[46:47] neg_lo:[0,1] neg_hi:[0,1]
	v_pk_add_f32 v[40:41], v[42:43], v[46:47]
	v_add_f32_e32 v43, v43, v43
	v_mov_b32_e32 v42, v50
	v_mul_f32_e32 v46, 0x3f6c835e, v89
	v_mov_b32_e32 v47, v37
	v_pk_add_f32 v[56:57], v[42:43], v[46:47] neg_lo:[0,1] neg_hi:[0,1]
	v_pk_mul_f32 v[42:43], v[58:59], s[6:7]
	v_pk_mul_f32 v[46:47], v[44:45], s[4:5]
	v_mul_f32_e32 v42, 0x3f6c835e, v58
	v_mul_f32_e32 v46, 0x3ec3ef15, v44
	v_pk_add_f32 v[42:43], v[38:39], v[42:43]
	v_pk_fma_f32 v[44:45], v[44:45], s[4:5], v[60:61]
	v_pk_add_f32 v[68:69], v[42:43], v[46:47] neg_lo:[0,1] neg_hi:[0,1]
	v_mov_b32_e32 v42, v39
	v_pk_fma_f32 v[46:47], v[58:59], s[6:7], v[44:45]
	v_fma_f32 v36, v86, 2.0, -v87
	v_fma_f32 v39, v71, 2.0, -v83
	;; [unrolled: 1-line block ×3, first 2 shown]
	v_mov_b32_e32 v77, v49
	v_mov_b32_e32 v41, v37
	v_sub_f32_e32 v49, v44, v39
	v_mul_f32_e32 v48, 0x3f6c835e, v88
	v_sub_f32_e32 v59, v85, v36
	v_mov_b32_e32 v43, v61
	v_mov_b32_e32 v54, v69
	;; [unrolled: 1-line block ×3, first 2 shown]
	v_fma_f32 v45, v60, 2.0, -v46
	v_pk_add_f32 v[62:63], v[40:41], v[48:49] neg_lo:[0,1] neg_hi:[0,1]
	v_fma_f32 v82, v44, 2.0, -v49
	v_mul_f32_e32 v58, 0x3f6c835e, v79
	v_add_f32_e32 v61, v38, v38
	v_fma_f32 v60, v85, 2.0, -v59
	v_fmamk_f32 v48, v78, 0xbf6c835e, v51
	v_pk_add_f32 v[38:39], v[32:33], v[52:53] neg_lo:[0,1] neg_hi:[0,1]
	v_mov_b32_e32 v83, v68
	v_pk_fma_f32 v[42:43], v[42:43], 2.0, v[54:55] op_sel_hi:[1,0,1] neg_lo:[0,0,1] neg_hi:[0,0,1]
	v_fmac_f32_e32 v48, 0x3ec3ef15, v89
	v_pk_add_f32 v[40:41], v[38:39], v[64:65] neg_lo:[0,1] neg_hi:[0,1]
	v_pk_add_f32 v[38:39], v[56:57], v[80:81] neg_lo:[0,1] neg_hi:[0,1]
	v_pk_add_f32 v[78:79], v[58:59], v[76:77]
	v_pk_add_f32 v[52:53], v[60:61], v[82:83] neg_lo:[0,1] neg_hi:[0,1]
	v_lshlrev_b32_e32 v95, 4, v0
	s_and_saveexec_b64 s[4:5], vcc
	s_cbranch_execz .LBB0_13
; %bb.12:
	s_movk_i32 s6, 0x700
	v_and_or_b32 v36, v95, s6, v73
	v_mov_b32_e32 v56, v57
	v_mov_b32_e32 v57, v60
	v_mov_b32_e32 v60, v39
	v_mov_b32_e32 v61, v52
	v_mov_b32_e32 v64, v38
	v_mov_b32_e32 v65, v48
	v_lshlrev_b32_e32 v49, 3, v36
	v_pk_fma_f32 v[56:57], v[56:57], 2.0, v[60:61] op_sel_hi:[1,0,1] neg_lo:[0,0,1] neg_hi:[0,0,1]
	v_pk_fma_f32 v[50:51], v[50:51], 2.0, v[64:65] op_sel_hi:[1,0,1] neg_lo:[0,0,1] neg_hi:[0,0,1]
	ds_write2_b64 v49, v[56:57], v[50:51] offset1:16
	v_mov_b32_e32 v50, v33
	v_mov_b32_e32 v51, v31
	;; [unrolled: 1-line block ×7, first 2 shown]
	v_pk_fma_f32 v[50:51], v[50:51], 2.0, v[56:57] op_sel_hi:[1,0,1] neg_lo:[0,0,1] neg_hi:[0,0,1]
	v_pk_fma_f32 v[32:33], v[32:33], 2.0, v[30:31] op_sel_hi:[1,0,1] neg_lo:[0,0,1] neg_hi:[0,0,1]
	ds_write2_b64 v49, v[50:51], v[32:33] offset0:32 offset1:48
	v_mov_b32_e32 v58, v37
	v_mov_b32_e32 v32, v63
	v_mov_b32_e32 v33, v79
	v_mov_b32_e32 v50, v62
	v_mov_b32_e32 v51, v78
	v_pk_fma_f32 v[36:37], v[58:59], 2.0, v[32:33] op_sel_hi:[1,0,1] neg_lo:[0,0,1] neg_hi:[0,0,1]
	v_pk_fma_f32 v[34:35], v[34:35], 2.0, v[50:51] op_sel_hi:[1,0,1] neg_lo:[0,0,1] neg_hi:[0,0,1]
	v_mov_b32_e32 v44, v53
	ds_write2_b64 v49, v[36:37], v[34:35] offset0:64 offset1:80
	ds_write2_b64 v49, v[42:43], v[44:45] offset0:96 offset1:112
	;; [unrolled: 1-line block ×5, first 2 shown]
	v_mov_b32_e32 v30, v68
	v_mov_b32_e32 v31, v46
	ds_write2_b64 v49, v[54:55], v[30:31] offset0:224 offset1:240
.LBB0_13:
	s_or_b64 exec, exec, s[4:5]
	s_load_dwordx4 s[4:7], s[0:1], 0x0
	v_mad_u64_u32 v[50:51], s[0:1], v0, 40, s[8:9]
	s_waitcnt lgkmcnt(0)
	s_barrier
	global_load_dwordx4 v[34:37], v[50:51], off offset:1920
	global_load_dwordx4 v[30:33], v[50:51], off offset:1936
	global_load_dwordx2 v[76:77], v[50:51], off offset:1952
	ds_read2st64_b64 v[54:57], v70 offset1:4
	ds_read2st64_b64 v[58:61], v70 offset0:8 offset1:12
	ds_read2st64_b64 v[80:83], v70 offset0:16 offset1:20
	s_mov_b32 s0, 0x3f5db3d7
	s_mov_b32 s1, 0xbf5db3d7
	v_or_b32_e32 v49, 0x300, v0
	v_lshlrev_b32_e32 v94, 3, v49
	s_waitcnt vmcnt(2) lgkmcnt(2)
	v_pk_mul_f32 v[50:51], v[56:57], v[34:35] op_sel_hi:[1,0]
	v_mov_b32_e32 v44, v35
	v_mov_b32_e32 v64, v37
	s_waitcnt vmcnt(1) lgkmcnt(1)
	v_pk_mul_f32 v[84:85], v[60:61], v[30:31] op_sel_hi:[1,0]
	v_mov_b32_e32 v86, v31
	v_mov_b32_e32 v88, v33
	s_waitcnt vmcnt(0) lgkmcnt(0)
	v_pk_mul_f32 v[90:91], v[82:83], v[76:77] op_sel_hi:[1,0]
	v_mov_b32_e32 v92, v77
	v_pk_fma_f32 v[96:97], v[56:57], v[44:45], v[50:51] op_sel:[0,0,1] op_sel_hi:[1,1,0]
	v_pk_fma_f32 v[50:51], v[56:57], v[34:35], v[50:51] op_sel:[0,1,1] op_sel_hi:[1,1,0] neg_lo:[1,0,0] neg_hi:[1,0,0]
	v_pk_mul_f32 v[56:57], v[58:59], v[64:65] op_sel_hi:[1,0]
	v_pk_fma_f32 v[64:65], v[60:61], v[86:87], v[84:85] op_sel:[0,0,1] op_sel_hi:[1,1,0]
	v_pk_fma_f32 v[60:61], v[60:61], v[30:31], v[84:85] op_sel:[0,1,1] op_sel_hi:[1,1,0] neg_lo:[1,0,0] neg_hi:[1,0,0]
	v_pk_mul_f32 v[84:85], v[80:81], v[88:89] op_sel_hi:[1,0]
	v_pk_fma_f32 v[86:87], v[82:83], v[92:93], v[90:91] op_sel:[0,0,1] op_sel_hi:[1,1,0]
	v_pk_fma_f32 v[82:83], v[82:83], v[76:77], v[90:91] op_sel:[0,1,1] op_sel_hi:[1,1,0] neg_lo:[1,0,0] neg_hi:[1,0,0]
	v_mov_b32_e32 v97, v51
	v_pk_fma_f32 v[50:51], v[58:59], v[36:37], v[56:57] op_sel:[0,0,1] op_sel_hi:[1,1,0] neg_lo:[0,0,1] neg_hi:[0,0,1]
	v_pk_fma_f32 v[56:57], v[58:59], v[36:37], v[56:57] op_sel:[0,0,1] op_sel_hi:[1,0,0]
	v_mov_b32_e32 v65, v61
	v_pk_fma_f32 v[58:59], v[80:81], v[32:33], v[84:85] op_sel:[0,0,1] op_sel_hi:[1,1,0] neg_lo:[0,0,1] neg_hi:[0,0,1]
	v_pk_fma_f32 v[60:61], v[80:81], v[32:33], v[84:85] op_sel:[0,0,1] op_sel_hi:[1,0,0]
	v_mov_b32_e32 v87, v83
	v_mov_b32_e32 v51, v57
	v_mov_b32_e32 v59, v61
	v_pk_add_f32 v[56:57], v[96:97], v[64:65]
	v_pk_add_f32 v[60:61], v[64:65], v[86:87]
	v_pk_add_f32 v[64:65], v[64:65], v[86:87] neg_lo:[0,1] neg_hi:[0,1]
	v_pk_add_f32 v[86:87], v[56:57], v[86:87]
	v_pk_fma_f32 v[56:57], v[60:61], 0.5, v[96:97] op_sel_hi:[1,0,1] neg_lo:[1,0,0] neg_hi:[1,0,0]
	v_pk_mul_f32 v[60:61], v[64:65], s[0:1] op_sel_hi:[1,0]
	v_pk_add_f32 v[80:81], v[54:55], v[50:51]
	v_pk_add_f32 v[82:83], v[50:51], v[58:59]
	v_pk_add_f32 v[50:51], v[50:51], v[58:59] neg_lo:[0,1] neg_hi:[0,1]
	v_pk_add_f32 v[64:65], v[60:61], v[56:57] op_sel:[1,0] op_sel_hi:[0,1]
	v_pk_add_f32 v[58:59], v[80:81], v[58:59]
	v_pk_fma_f32 v[54:55], v[82:83], 0.5, v[54:55] op_sel_hi:[1,0,1] neg_lo:[1,0,0] neg_hi:[1,0,0]
	v_pk_mul_f32 v[50:51], v[50:51], s[0:1] op_sel_hi:[1,0]
	v_pk_add_f32 v[56:57], v[56:57], v[60:61] op_sel:[0,1] op_sel_hi:[1,0] neg_lo:[0,1] neg_hi:[0,1]
	v_mul_f32_e32 v61, 0xbf5db3d7, v65
	v_pk_add_f32 v[82:83], v[50:51], v[54:55] op_sel:[1,0] op_sel_hi:[0,1]
	v_pk_add_f32 v[50:51], v[54:55], v[50:51] op_sel:[0,1] op_sel_hi:[1,0] neg_lo:[0,1] neg_hi:[0,1]
	v_mov_b32_e32 v88, v64
	v_mov_b32_e32 v89, v57
	v_mul_f32_e32 v57, 0x3f5db3d7, v56
	v_mov_b32_e32 v44, v59
	v_fmac_f32_e32 v61, 0.5, v56
	v_mov_b32_e32 v60, v87
	v_mov_b32_e32 v91, v58
	v_fmac_f32_e32 v57, 0.5, v65
	v_pk_add_f32 v[84:85], v[44:45], v[86:87]
	v_mov_b32_e32 v59, v51
	v_pk_mul_f32 v[64:65], v[88:89], 0.5 op_sel_hi:[1,0]
	v_pk_add_f32 v[80:81], v[44:45], v[86:87] neg_lo:[0,1] neg_hi:[0,1]
	v_mov_b32_e32 v90, v51
	v_mov_b32_e32 v86, v61
	;; [unrolled: 1-line block ×4, first 2 shown]
	v_add_f32_e32 v56, v82, v57
	v_pk_add_f32 v[54:55], v[58:59], v[60:61]
	v_pk_fma_f32 v[64:65], v[88:89], s[0:1], v[64:65] op_sel:[0,0,1] op_sel_hi:[1,1,0] neg_lo:[0,0,1] neg_hi:[0,0,1]
	v_sub_f32_e32 v58, v82, v57
	v_pk_add_f32 v[82:83], v[90:91], v[86:87] neg_lo:[0,1] neg_hi:[0,1]
	v_mov_b32_e32 v89, v84
	v_mov_b32_e32 v97, v80
	v_pk_add_f32 v[50:51], v[92:93], v[64:65]
	v_pk_add_f32 v[60:61], v[92:93], v[64:65] neg_lo:[0,1] neg_hi:[0,1]
	v_mov_b32_e32 v88, v54
	v_mov_b32_e32 v57, v55
	;; [unrolled: 1-line block ×3, first 2 shown]
	ds_write2st64_b64 v70, v[88:89], v[56:57] offset1:4
	v_mov_b32_e32 v59, v82
	ds_write2st64_b64 v70, v[50:51], v[96:97] offset0:8 offset1:12
	ds_write2st64_b64 v70, v[58:59], v[60:61] offset0:16 offset1:20
	s_waitcnt lgkmcnt(0)
	s_barrier
	s_and_saveexec_b64 s[8:9], vcc
	s_cbranch_execz .LBB0_15
; %bb.14:
	s_add_u32 s10, s12, 0x3000
	s_addc_u32 s11, s13, 0
	global_load_dwordx2 v[90:91], v70, s[10:11]
	ds_read2_b64 v[86:89], v70 offset1:96
	v_mov_b32_e32 v71, 0
	v_lshl_add_u64 v[64:65], s[10:11], 0, v[70:71]
	s_movk_i32 s0, 0x1000
	s_waitcnt vmcnt(0) lgkmcnt(0)
	v_mul_f32_e32 v44, v87, v91
	v_mul_f32_e32 v93, v86, v91
	v_fma_f32 v92, v86, v90, -v44
	v_fmac_f32_e32 v93, v87, v90
	global_load_dwordx2 v[86:87], v70, s[10:11] offset:768
	s_waitcnt vmcnt(0)
	v_mul_f32_e32 v44, v89, v87
	v_mul_f32_e32 v91, v88, v87
	v_fma_f32 v90, v88, v86, -v44
	v_fmac_f32_e32 v91, v89, v86
	ds_write2_b64 v70, v[92:93], v[90:91] offset1:96
	global_load_dwordx2 v[90:91], v70, s[10:11] offset:1536
	v_add_u32_e32 v44, 0x400, v70
	ds_read2_b64 v[86:89], v44 offset0:64 offset1:160
	s_waitcnt vmcnt(0) lgkmcnt(0)
	v_mul_f32_e32 v49, v87, v91
	v_mul_f32_e32 v93, v86, v91
	v_fma_f32 v92, v86, v90, -v49
	v_fmac_f32_e32 v93, v87, v90
	global_load_dwordx2 v[86:87], v70, s[10:11] offset:2304
	s_waitcnt vmcnt(0)
	v_mul_f32_e32 v49, v89, v87
	v_mul_f32_e32 v91, v88, v87
	v_fma_f32 v90, v88, v86, -v49
	v_fmac_f32_e32 v91, v89, v86
	ds_write2_b64 v44, v[92:93], v[90:91] offset0:64 offset1:160
	global_load_dwordx2 v[90:91], v70, s[10:11] offset:3072
	v_add_u32_e32 v44, 0x800, v70
	ds_read2_b64 v[86:89], v44 offset0:128 offset1:224
	s_waitcnt vmcnt(0) lgkmcnt(0)
	v_mul_f32_e32 v49, v87, v91
	v_mul_f32_e32 v93, v86, v91
	v_fma_f32 v92, v86, v90, -v49
	v_fmac_f32_e32 v93, v87, v90
	global_load_dwordx2 v[86:87], v70, s[10:11] offset:3840
	s_waitcnt vmcnt(0)
	v_mul_f32_e32 v49, v89, v87
	v_mul_f32_e32 v91, v88, v87
	v_fma_f32 v90, v88, v86, -v49
	v_fmac_f32_e32 v91, v89, v86
	ds_write2_b64 v44, v[92:93], v[90:91] offset0:128 offset1:224
	v_add_co_u32_e64 v90, s[0:1], s0, v64
	v_add_u32_e32 v44, 0x1000, v70
	s_nop 0
	v_addc_co_u32_e64 v91, s[0:1], 0, v65, s[0:1]
	global_load_dwordx2 v[92:93], v[90:91], off offset:512
	ds_read2_b64 v[86:89], v44 offset0:64 offset1:160
	s_movk_i32 s0, 0x2000
	v_add_co_u32_e64 v64, s[0:1], s0, v64
	s_waitcnt vmcnt(0) lgkmcnt(0)
	v_mul_f32_e32 v49, v87, v93
	v_mul_f32_e32 v97, v86, v93
	v_fma_f32 v96, v86, v92, -v49
	v_fmac_f32_e32 v97, v87, v92
	global_load_dwordx2 v[86:87], v[90:91], off offset:1280
	v_addc_co_u32_e64 v65, s[0:1], 0, v65, s[0:1]
	s_waitcnt vmcnt(0)
	v_mul_f32_e32 v49, v89, v87
	v_mul_f32_e32 v93, v88, v87
	v_fma_f32 v92, v88, v86, -v49
	v_fmac_f32_e32 v93, v89, v86
	ds_write2_b64 v44, v[96:97], v[92:93] offset0:64 offset1:160
	global_load_dwordx2 v[92:93], v94, s[10:11]
	v_add_u32_e32 v44, 0x1800, v70
	ds_read2_b64 v[86:89], v44 offset1:96
	s_waitcnt vmcnt(0) lgkmcnt(0)
	v_mul_f32_e32 v49, v87, v93
	v_mul_f32_e32 v97, v86, v93
	v_fma_f32 v96, v86, v92, -v49
	v_fmac_f32_e32 v97, v87, v92
	global_load_dwordx2 v[86:87], v[90:91], off offset:2816
	s_waitcnt vmcnt(0)
	v_mul_f32_e32 v49, v89, v87
	global_load_dwordx2 v[90:91], v[90:91], off offset:3584
	v_mul_f32_e32 v93, v88, v87
	v_fma_f32 v92, v88, v86, -v49
	v_fmac_f32_e32 v93, v89, v86
	ds_write2_b64 v44, v[96:97], v[92:93] offset1:96
	v_add_u32_e32 v44, 0x1c00, v70
	ds_read2_b64 v[86:89], v44 offset0:64 offset1:160
	s_waitcnt vmcnt(0) lgkmcnt(0)
	v_mul_f32_e32 v49, v87, v91
	v_mul_f32_e32 v93, v86, v91
	v_fma_f32 v92, v86, v90, -v49
	v_fmac_f32_e32 v93, v87, v90
	global_load_dwordx2 v[86:87], v[64:65], off offset:256
	s_waitcnt vmcnt(0)
	v_mul_f32_e32 v49, v89, v87
	v_mul_f32_e32 v91, v88, v87
	v_fma_f32 v90, v88, v86, -v49
	v_fmac_f32_e32 v91, v89, v86
	v_or_b32_e32 v49, 0x2400, v70
	ds_write2_b64 v44, v[92:93], v[90:91] offset0:64 offset1:160
	global_load_dwordx2 v[90:91], v49, s[10:11]
	v_add_u32_e32 v44, 0x2000, v70
	ds_read2_b64 v[86:89], v44 offset0:128 offset1:224
	s_waitcnt vmcnt(0) lgkmcnt(0)
	v_mul_f32_e32 v49, v87, v91
	v_mul_f32_e32 v93, v86, v91
	v_fma_f32 v92, v86, v90, -v49
	v_fmac_f32_e32 v93, v87, v90
	global_load_dwordx2 v[86:87], v[64:65], off offset:1792
	s_waitcnt vmcnt(0)
	v_mul_f32_e32 v49, v89, v87
	v_mul_f32_e32 v91, v88, v87
	v_fma_f32 v90, v88, v86, -v49
	v_fmac_f32_e32 v91, v89, v86
	ds_write2_b64 v44, v[92:93], v[90:91] offset0:128 offset1:224
	global_load_dwordx2 v[90:91], v[64:65], off offset:2560
	v_add_u32_e32 v44, 0x2800, v70
	global_load_dwordx2 v[64:65], v[64:65], off offset:3328
	ds_read2_b64 v[86:89], v44 offset0:64 offset1:160
	s_waitcnt vmcnt(1) lgkmcnt(0)
	v_mul_f32_e32 v49, v87, v91
	v_mul_f32_e32 v93, v86, v91
	v_fma_f32 v92, v86, v90, -v49
	v_fmac_f32_e32 v93, v87, v90
	s_waitcnt vmcnt(0)
	v_mul_f32_e32 v49, v89, v65
	v_mul_f32_e32 v87, v88, v65
	v_fma_f32 v86, v88, v64, -v49
	v_fmac_f32_e32 v87, v89, v64
	ds_write2_b64 v44, v[92:93], v[86:87] offset0:64 offset1:160
.LBB0_15:
	s_or_b64 exec, exec, s[8:9]
	s_waitcnt lgkmcnt(0)
	s_barrier
	s_waitcnt lgkmcnt(0)
                                        ; implicit-def: $vgpr86_vgpr87
                                        ; implicit-def: $vgpr90_vgpr91
                                        ; implicit-def: $vgpr88_vgpr89
                                        ; implicit-def: $vgpr64_vgpr65
	s_and_saveexec_b64 s[0:1], s[2:3]
	s_xor_b64 s[0:1], exec, s[0:1]
; %bb.16:
	v_mov_b64_e32 v[86:87], v[82:83]
	v_mov_b64_e32 v[90:91], v[54:55]
	;; [unrolled: 1-line block ×4, first 2 shown]
; %bb.17:
	s_andn2_saveexec_b64 s[0:1], s[0:1]
	s_cbranch_execz .LBB0_19
; %bb.18:
	v_add_u32_e32 v38, 0x400, v70
	ds_read2_b64 v[50:53], v38 offset0:64 offset1:160
	v_add_u32_e32 v38, 0x800, v70
	ds_read2_b64 v[58:61], v38 offset0:128 offset1:224
	;; [unrolled: 2-line block ×3, first 2 shown]
	v_add_u32_e32 v38, 0x1800, v70
	ds_read2_b64 v[90:93], v38 offset1:96
	v_add_u32_e32 v38, 0x2000, v70
	ds_read2_b64 v[62:65], v38 offset0:128 offset1:224
	v_add_u32_e32 v38, 0x1c00, v70
	v_add_u32_e32 v46, 0x2800, v70
	ds_read2_b64 v[54:57], v70 offset1:96
	ds_read2_b64 v[38:41], v38 offset0:64 offset1:160
	ds_read2_b64 v[46:49], v46 offset0:64 offset1:160
	s_waitcnt lgkmcnt(3)
	v_mov_b32_e32 v78, v65
	v_mov_b32_e32 v79, v63
	v_mov_b32_e32 v65, v62
	s_waitcnt lgkmcnt(1)
	v_mov_b32_e32 v66, v41
	v_mov_b32_e32 v67, v39
	s_waitcnt lgkmcnt(0)
	v_mov_b32_e32 v68, v48
	v_mov_b32_e32 v69, v46
	;; [unrolled: 1-line block ×19, first 2 shown]
.LBB0_19:
	s_or_b64 exec, exec, s[0:1]
	v_mov_b32_e32 v52, v79
	v_mov_b32_e32 v44, v39
	v_add_f32_e32 v71, v54, v54
	v_pk_add_f32 v[54:55], v[86:87], v[52:53] neg_lo:[0,1] neg_hi:[0,1]
	v_mov_b32_e32 v52, v69
	v_pk_add_f32 v[92:93], v[90:91], v[44:45] neg_lo:[0,1] neg_hi:[0,1]
	v_mov_b32_e32 v97, 2.0
	v_mov_b32_e32 v96, v88
	v_sub_f32_e32 v44, v58, v63
	v_pk_add_f32 v[62:63], v[42:43], v[52:53] neg_lo:[0,1] neg_hi:[0,1]
	v_mov_b32_e32 v52, v61
	v_pk_add_f32 v[98:99], v[84:85], v[96:97] op_sel_hi:[0,1] neg_lo:[0,1] neg_hi:[0,1]
	v_pk_mul_f32 v[84:85], v[84:85], v[96:97] op_sel_hi:[0,1]
	v_fma_f32 v108, v58, 2.0, -v44
	v_sub_f32_e32 v58, v43, v47
	v_sub_f32_e32 v38, v56, v38
	v_mov_b32_e32 v49, v97
	v_add_f32_e32 v81, v56, v56
	v_pk_add_f32 v[56:57], v[52:53], v[78:79] neg_lo:[0,1] neg_hi:[0,1]
	v_mov_b32_e32 v99, v85
	v_fma_f32 v103, v42, 2.0, -v62
	v_fma_f32 v109, v43, 2.0, -v58
	v_pk_add_f32 v[42:43], v[90:91], v[48:49] op_sel:[1,0] neg_lo:[0,1] neg_hi:[0,1]
	v_pk_add_f32 v[48:49], v[90:91], v[90:91]
	v_mov_b32_e32 v57, v81
	v_mov_b32_e32 v81, v87
	;; [unrolled: 1-line block ×5, first 2 shown]
	v_pk_add_f32 v[48:49], v[60:61], v[64:65] neg_lo:[0,1] neg_hi:[0,1]
	v_add_f32_e32 v65, v83, v83
	v_sub_f32_e32 v64, v45, v46
	v_pk_add_f32 v[84:85], v[80:81], v[84:85] neg_lo:[0,1] neg_hi:[0,1]
	v_mov_b32_e32 v52, v89
	s_mov_b32 s0, 0x3f3504f3
	v_pk_add_f32 v[86:87], v[64:65], v[84:85] op_sel:[0,1]
	v_fma_f32 v39, v82, 2.0, -v54
	v_pk_add_f32 v[68:69], v[52:53], v[68:69] neg_lo:[0,1] neg_hi:[0,1]
	v_pk_mul_f32 v[88:89], v[86:87], s[0:1]
	v_fma_f32 v47, v60, 2.0, -v48
	v_fma_f32 v61, v61, 2.0, -v56
	;; [unrolled: 1-line block ×4, first 2 shown]
	v_pk_add_f32 v[78:79], v[56:57], v[38:39] op_sel_hi:[1,0]
	v_pk_add_f32 v[56:57], v[56:57], v[38:39] op_sel_hi:[1,0] neg_lo:[0,1] neg_hi:[0,1]
	v_mov_b32_e32 v49, v42
	v_mov_b32_e32 v52, 0x3f3504f3
	v_fma_f32 v40, v80, 2.0, -v84
	v_pk_add_f32 v[68:69], v[84:85], v[68:69] neg_lo:[0,1] neg_hi:[0,1]
	v_pk_add_f32 v[64:65], v[64:65], v[84:85] op_sel:[0,1] neg_lo:[0,1] neg_hi:[0,1]
	v_mov_b32_e32 v46, v88
	v_pk_add_f32 v[48:49], v[42:43], v[48:49] neg_lo:[0,1] neg_hi:[0,1]
	v_sub_f32_e32 v45, v40, v45
	v_pk_add_f32 v[90:91], v[64:65], v[52:53] neg_lo:[0,1] neg_hi:[0,1]
	v_pk_add_f32 v[46:47], v[56:57], v[46:47] neg_lo:[0,1] neg_hi:[0,1]
	v_mov_b32_e32 v69, v86
	v_mov_b32_e32 v55, v71
	v_fma_f32 v71, v42, 2.0, -v48
	v_fma_f32 v81, v40, 2.0, -v45
	;; [unrolled: 1-line block ×4, first 2 shown]
	v_pk_fma_f32 v[64:65], v[84:85], 2.0, v[68:69] op_sel_hi:[1,0,1] neg_lo:[0,0,1] neg_hi:[0,0,1]
	v_fma_f32 v38, v38, 2.0, -v78
	v_mul_f32_e32 v60, 0x3f3504f3, v68
	v_pk_fma_f32 v[96:97], v[86:87], s[0:1], v[78:79]
	v_sub_f32_e32 v87, v40, v42
	v_pk_mul_f32 v[64:65], v[64:65], s[0:1] op_sel_hi:[1,0]
	v_pk_add_f32 v[56:57], v[48:49], v[60:61]
	v_pk_add_f32 v[100:101], v[48:49], v[60:61] neg_lo:[0,1] neg_hi:[0,1]
	v_fma_f32 v90, v40, 2.0, -v87
	v_sub_f32_e32 v40, v38, v65
	v_add_f32_e32 v43, v49, v49
	v_mov_b32_e32 v89, v91
	v_mov_b32_e32 v57, v101
	v_sub_f32_e32 v42, v71, v64
	v_add_f32_e32 v40, v64, v40
	v_mov_b32_e32 v100, v65
	v_mov_b32_e32 v66, v41
	;; [unrolled: 1-line block ×3, first 2 shown]
	v_fma_f32 v110, v38, 2.0, -v40
	v_mov_b32_e32 v61, v45
	v_pk_add_f32 v[56:57], v[56:57], v[88:89] neg_lo:[0,1] neg_hi:[0,1]
	v_mul_f32_e32 v88, 0x3ec3ef15, v40
	v_mul_f32_e32 v86, 0x3f6c835e, v40
	v_pk_add_f32 v[42:43], v[42:43], v[100:101] neg_lo:[0,1] neg_hi:[0,1]
	v_mov_b32_e32 v80, 0x3f6c835e
	v_pk_add_f32 v[40:41], v[50:51], v[66:67] neg_lo:[0,1] neg_hi:[0,1]
	v_pk_add_f32 v[96:97], v[60:61], v[96:97]
	s_mov_b32 s10, 0x3f6c835e
	s_mov_b32 s11, s0
	v_pk_add_f32 v[60:61], v[42:43], v[80:81] neg_lo:[0,1] neg_hi:[0,1]
	v_fma_f32 v38, v51, 2.0, -v41
	v_mov_b32_e32 v49, v101
	v_pk_mul_f32 v[100:101], v[42:43], s[10:11]
	v_fma_f32 v91, v43, 2.0, -v61
	v_sub_f32_e32 v43, v38, v109
	v_mov_b32_e32 v45, v98
	v_mov_b32_e32 v53, v103
	v_fma_f32 v103, v38, 2.0, -v43
	v_mov_b32_e32 v38, v41
	v_add_f32_e32 v59, v50, v50
	v_pk_add_f32 v[64:65], v[98:99], v[44:45] neg_lo:[0,1] neg_hi:[0,1]
	v_pk_add_f32 v[44:45], v[38:39], v[62:63] neg_lo:[0,1] neg_hi:[0,1]
	v_mov_b32_e32 v101, v61
	v_fma_f32 v71, v71, 2.0, -v42
	v_mul_f32_e32 v102, 0x3ec3ef15, v42
	v_mul_f32_e32 v42, 0x3f3504f3, v44
	v_pk_add_f32 v[60:61], v[58:59], v[40:41] op_sel_hi:[1,0]
	v_pk_add_f32 v[58:59], v[58:59], v[40:41] op_sel_hi:[1,0] neg_lo:[0,1] neg_hi:[0,1]
	v_mov_b32_e32 v38, v42
	v_mov_b32_e32 v58, v60
	v_pk_add_f32 v[50:51], v[64:65], v[42:43]
	v_pk_add_f32 v[38:39], v[64:65], v[38:39] neg_lo:[0,1] neg_hi:[0,1]
	v_pk_mul_f32 v[62:63], v[60:61], s[0:1]
	v_pk_add_f32 v[66:67], v[58:59], v[52:53] neg_lo:[0,1] neg_hi:[0,1]
	v_pk_add_f32 v[82:83], v[54:55], v[92:93] op_sel_hi:[1,0]
	v_pk_add_f32 v[54:55], v[54:55], v[92:93] op_sel_hi:[1,0] neg_lo:[0,1] neg_hi:[0,1]
	v_mov_b32_e32 v51, v39
	v_mov_b32_e32 v63, v67
	v_mov_b32_e32 v61, v44
	v_mul_f32_e32 v54, 0x3ec3ef15, v110
	v_pk_fma_f32 v[40:41], v[40:41], 2.0, v[60:61] op_sel_hi:[1,0,1] neg_lo:[0,0,1] neg_hi:[0,0,1]
	v_pk_add_f32 v[60:61], v[50:51], v[62:63] neg_lo:[0,1] neg_hi:[0,1]
	v_mov_b32_e32 v63, v108
	v_pk_fma_f32 v[44:45], v[58:59], v[52:53], v[82:83]
	v_pk_add_f32 v[50:51], v[54:55], v[62:63] neg_lo:[0,1] neg_hi:[0,1]
	v_mov_b32_e32 v79, v47
	v_mov_b32_e32 v45, v51
	v_pk_add_f32 v[108:109], v[42:43], v[44:45]
	v_mov_b32_e32 v83, v51
	s_mov_b32 s8, 0x3ec3ef15
	v_pk_fma_f32 v[46:47], v[78:79], 2.0, v[96:97] op_sel_hi:[1,0,1] neg_lo:[0,0,1] neg_hi:[0,0,1]
	v_pk_fma_f32 v[48:49], v[48:49], 2.0, v[56:57] op_sel_hi:[1,0,1] neg_lo:[0,0,1] neg_hi:[0,0,1]
	s_mov_b32 s9, s0
	v_pk_fma_f32 v[42:43], v[82:83], 2.0, v[108:109] op_sel_hi:[1,0,1] neg_lo:[0,0,1] neg_hi:[0,0,1]
	v_pk_mul_f32 v[68:69], v[48:49], s[10:11]
	v_add_f32_e32 v81, v65, v65
	v_pk_fma_f32 v[44:45], v[46:47], s[8:9], v[42:43] neg_lo:[1,0,0] neg_hi:[1,0,0]
	v_mov_b32_e32 v65, v39
	v_pk_mul_f32 v[84:85], v[46:47], s[8:9]
	v_mul_f32_e32 v68, 0x3ec3ef15, v48
	v_pk_fma_f32 v[78:79], v[48:49], s[10:11], v[44:45]
	v_pk_fma_f32 v[48:49], v[64:65], 2.0, v[60:61] op_sel_hi:[1,0,1] neg_lo:[0,0,1] neg_hi:[0,0,1]
	v_mov_b32_e32 v93, v98
	v_mov_b32_e32 v83, v64
	v_mul_f32_e32 v84, 0x3f6c835e, v46
	v_mov_b32_e32 v44, v43
	v_mov_b32_e32 v45, v49
	v_pk_add_f32 v[46:47], v[48:49], v[68:69] neg_lo:[0,1] neg_hi:[0,1]
	v_mov_b32_e32 v43, v48
	v_pk_fma_f32 v[48:49], v[92:93], 2.0, v[82:83] op_sel_hi:[1,0,1] neg_lo:[0,0,1] neg_hi:[0,0,1]
	v_fma_f32 v89, v59, 2.0, -v67
	v_pk_mul_f32 v[66:67], v[40:41], s[0:1] op_sel_hi:[1,0]
	v_pk_fma_f32 v[40:41], v[40:41], s[0:1], v[48:49] op_sel_hi:[1,0,1] neg_lo:[1,0,0] neg_hi:[1,0,0]
	v_fma_f32 v59, v55, 2.0, -v51
	v_mov_b32_e32 v38, v66
	v_mov_b32_e32 v58, v67
	;; [unrolled: 1-line block ×3, first 2 shown]
	v_pk_add_f32 v[62:63], v[58:59], v[40:41]
	v_pk_add_f32 v[38:39], v[80:81], v[38:39] neg_lo:[0,1] neg_hi:[0,1]
	v_mov_b32_e32 v66, v62
	v_mov_b32_e32 v67, v38
	;; [unrolled: 1-line block ×3, first 2 shown]
	v_pk_fma_f32 v[64:65], v[48:49], 2.0, v[66:67] op_sel_hi:[1,0,1] neg_lo:[0,0,1] neg_hi:[0,0,1]
	v_pk_add_f32 v[48:49], v[62:63], v[88:89]
	v_pk_add_f32 v[62:63], v[58:59], v[88:89] neg_lo:[0,1] neg_hi:[0,1]
	v_pk_add_f32 v[46:47], v[46:47], v[84:85] neg_lo:[0,1] neg_hi:[0,1]
	v_mov_b32_e32 v49, v63
	v_pk_add_f32 v[84:85], v[38:39], v[102:103] neg_lo:[0,1] neg_hi:[0,1]
	v_pk_mul_f32 v[104:105], v[56:57], s[8:9]
	v_fma_f32 v68, v59, 2.0, -v63
	v_pk_add_f32 v[80:81], v[100:101], v[48:49]
	v_pk_add_f32 v[48:49], v[38:39], v[102:103]
	v_mov_b32_e32 v84, v63
	v_pk_fma_f32 v[62:63], v[96:97], s[10:11], v[108:109]
	v_pk_mul_f32 v[106:107], v[96:97], s[10:11]
	v_mul_f32_e32 v104, 0x3f6c835e, v56
	v_mov_b32_e32 v49, v85
	v_pk_fma_f32 v[82:83], v[56:57], s[8:9], v[62:63]
	v_mul_f32_e32 v106, 0x3ec3ef15, v96
	v_pk_add_f32 v[58:59], v[48:49], v[86:87] neg_lo:[0,1] neg_hi:[0,1]
	v_fmamk_f32 v48, v71, 0xbf6c835e, v65
	v_pk_add_f32 v[56:57], v[104:105], v[60:61]
	v_add_f32_e32 v49, v108, v108
	v_mov_b32_e32 v55, v82
	v_fmamk_f32 v40, v110, 0xbf6c835e, v64
	v_fma_f32 v69, v39, 2.0, -v85
	v_pk_add_f32 v[62:63], v[56:57], v[106:107] neg_lo:[0,1] neg_hi:[0,1]
	v_pk_add_f32 v[48:49], v[48:49], v[54:55] neg_lo:[0,1] neg_hi:[0,1]
	v_mov_b32_e32 v50, v79
	v_mov_b32_e32 v51, v47
	;; [unrolled: 1-line block ×4, first 2 shown]
	v_fmac_f32_e32 v40, 0x3ec3ef15, v71
	v_mov_b32_e32 v86, v81
	v_mov_b32_e32 v87, v59
	v_pk_add_f32 v[38:39], v[68:69], v[90:91] neg_lo:[0,1] neg_hi:[0,1]
	v_mov_b32_e32 v88, v80
	v_mov_b32_e32 v89, v58
	;; [unrolled: 1-line block ×7, first 2 shown]
	s_barrier
	s_and_saveexec_b64 s[0:1], s[2:3]
	s_xor_b64 s[0:1], exec, s[0:1]
; %bb.20:
                                        ; implicit-def: $vgpr1
; %bb.21:
	s_or_saveexec_b64 s[0:1], s[0:1]
	v_pk_fma_f32 v[54:55], v[44:45], 2.0, v[50:51] op_sel_hi:[1,0,1] neg_lo:[0,0,1] neg_hi:[0,0,1]
	v_pk_fma_f32 v[56:57], v[42:43], 2.0, v[52:53] op_sel_hi:[1,0,1] neg_lo:[0,0,1] neg_hi:[0,0,1]
	v_pk_fma_f32 v[50:51], v[84:85], 2.0, v[86:87] op_sel_hi:[1,0,1] neg_lo:[0,0,1] neg_hi:[0,0,1]
	v_pk_fma_f32 v[42:43], v[68:69], 2.0, v[38:39] op_sel_hi:[1,0,1] neg_lo:[0,0,1] neg_hi:[0,0,1]
	v_pk_fma_f32 v[52:53], v[66:67], 2.0, v[88:89] op_sel_hi:[1,0,1] neg_lo:[0,0,1] neg_hi:[0,0,1]
	v_pk_fma_f32 v[66:67], v[90:91], 2.0, v[92:93] op_sel_hi:[1,0,1] neg_lo:[0,0,1] neg_hi:[0,0,1]
	v_pk_fma_f32 v[44:45], v[64:65], 2.0, v[40:41] op_sel_hi:[1,0,1] neg_lo:[0,0,1] neg_hi:[0,0,1]
	v_fma_f32 v69, v60, 2.0, -v62
	s_xor_b64 exec, exec, s[0:1]
	s_cbranch_execz .LBB0_23
; %bb.22:
	v_mov_b32_e32 v68, v49
	ds_write_b128 v1, v[42:45]
	ds_write_b128 v1, v[54:57] offset:16
	ds_write_b128 v1, v[50:53] offset:32
	;; [unrolled: 1-line block ×3, first 2 shown]
	ds_write_b96 v1, v[38:40] offset:64
	ds_write2_b32 v1, v48, v79 offset0:19 offset1:20
	ds_write2_b32 v1, v47, v78 offset0:21 offset1:22
	;; [unrolled: 1-line block ×5, first 2 shown]
	v_mov_b32_e32 v60, v63
	v_mov_b32_e32 v41, v82
	ds_write2_b32 v1, v63, v82 offset0:29 offset1:30
	ds_write_b32 v1, v62 offset:124
.LBB0_23:
	s_or_b64 exec, exec, s[0:1]
	s_waitcnt lgkmcnt(0)
	s_barrier
	s_and_saveexec_b64 s[0:1], s[2:3]
	s_xor_b64 s[0:1], exec, s[0:1]
	s_andn2_saveexec_b64 s[0:1], s[0:1]
	s_cbranch_execz .LBB0_25
; %bb.24:
	v_add_u32_e32 v1, 0x400, v70
	ds_read2_b64 v[54:57], v1 offset0:64 offset1:160
	v_add_u32_e32 v1, 0x800, v70
	ds_read2_b64 v[50:53], v1 offset0:128 offset1:224
	;; [unrolled: 2-line block ×3, first 2 shown]
	v_add_u32_e32 v1, 0x1800, v70
	ds_read2_b64 v[38:41], v1 offset1:96
	v_add_u32_e32 v1, 0x2800, v70
	ds_read2_b64 v[62:65], v1 offset0:64 offset1:160
	v_add_u32_e32 v1, 0x2000, v70
	ds_read2_b64 v[58:61], v1 offset0:128 offset1:224
	;; [unrolled: 2-line block ×3, first 2 shown]
	ds_read2_b64 v[42:45], v70 offset1:96
	s_waitcnt lgkmcnt(3)
	v_mov_b32_e32 v82, v64
	v_mov_b32_e32 v83, v62
	s_waitcnt lgkmcnt(2)
	v_mov_b32_e32 v80, v60
	v_mov_b32_e32 v81, v58
	;; [unrolled: 3-line block ×3, first 2 shown]
	v_mov_b32_e32 v62, v65
	v_mov_b32_e32 v58, v61
	;; [unrolled: 1-line block ×5, first 2 shown]
.LBB0_25:
	s_or_b64 exec, exec, s[0:1]
	v_mov_b32_e32 v88, v34
	v_mov_b32_e32 v89, v34
	;; [unrolled: 1-line block ×15, first 2 shown]
	s_waitcnt lgkmcnt(0)
	s_barrier
	s_and_saveexec_b64 s[0:1], vcc
	s_cbranch_execz .LBB0_27
; %bb.26:
	v_pk_mul_f32 v[96:97], v[20:21], v[66:67] op_sel:[0,1]
	v_pk_mul_f32 v[98:99], v[28:29], v[62:63] op_sel:[0,1]
	v_pk_fma_f32 v[114:115], v[20:21], v[66:67], v[96:97] op_sel:[0,0,1] op_sel_hi:[1,1,0]
	v_pk_fma_f32 v[20:21], v[20:21], v[66:67], v[96:97] op_sel:[0,0,1] op_sel_hi:[1,0,0] neg_lo:[1,0,0] neg_hi:[1,0,0]
	v_pk_mul_f32 v[90:91], v[4:5], v[54:55] op_sel:[0,1]
	v_mov_b32_e32 v115, v21
	v_pk_fma_f32 v[20:21], v[28:29], v[82:83], v[98:99] op_sel:[0,1,1] op_sel_hi:[1,1,0]
	v_pk_fma_f32 v[28:29], v[28:29], v[82:83], v[98:99] op_sel:[0,1,1] op_sel_hi:[1,1,0] neg_lo:[1,0,0] neg_hi:[1,0,0]
	v_pk_mul_f32 v[92:93], v[12:13], v[46:47] op_sel:[0,1]
	v_mov_b32_e32 v21, v29
	;; [unrolled: 4-line block ×5, first 2 shown]
	v_mov_b32_e32 v13, v9
	v_pk_fma_f32 v[8:9], v[16:17], v[80:81], v[104:105] op_sel:[0,1,1] op_sel_hi:[1,1,0]
	v_pk_fma_f32 v[16:17], v[16:17], v[80:81], v[104:105] op_sel:[0,1,1] op_sel_hi:[1,1,0] neg_lo:[1,0,0] neg_hi:[1,0,0]
	v_pk_mul_f32 v[68:69], v[22:23], v[68:69] op_sel_hi:[1,0]
	v_mov_b32_e32 v9, v17
	v_pk_fma_f32 v[16:17], v[24:25], v[38:39], v[100:101] op_sel:[0,0,1] op_sel_hi:[1,1,0]
	v_pk_fma_f32 v[24:25], v[24:25], v[38:39], v[100:101] op_sel:[0,0,1] op_sel_hi:[1,0,0] neg_lo:[1,0,0] neg_hi:[1,0,0]
	v_pk_mul_f32 v[62:63], v[74:75], v[62:63] op_sel_hi:[1,0]
	v_mov_b32_e32 v17, v25
	v_pk_fma_f32 v[24:25], v[22:23], v[48:49], v[68:69] op_sel:[0,1,1] op_sel_hi:[1,1,0]
	v_pk_fma_f32 v[22:23], v[22:23], v[48:49], v[68:69] op_sel:[0,1,1] op_sel_hi:[1,1,0] neg_lo:[1,0,0] neg_hi:[1,0,0]
	v_pk_mul_f32 v[106:107], v[6:7], v[56:57] op_sel:[0,1]
	v_mov_b32_e32 v25, v23
	v_pk_fma_f32 v[22:23], v[74:75], v[82:83], v[62:63] op_sel:[0,0,1] op_sel_hi:[1,1,0]
	v_pk_fma_f32 v[38:39], v[74:75], v[82:83], v[62:63] op_sel:[0,0,1] op_sel_hi:[1,0,0] neg_lo:[1,0,0] neg_hi:[1,0,0]
	v_pk_mul_f32 v[46:47], v[14:15], v[46:47] op_sel_hi:[1,0]
	v_mov_b32_e32 v23, v39
	v_pk_fma_f32 v[38:39], v[6:7], v[56:57], v[106:107] op_sel:[0,0,1] op_sel_hi:[1,1,0]
	v_pk_fma_f32 v[6:7], v[6:7], v[56:57], v[106:107] op_sel:[0,0,1] op_sel_hi:[1,0,0] neg_lo:[1,0,0] neg_hi:[1,0,0]
	v_pk_mul_f32 v[112:113], v[18:19], v[52:53] op_sel:[0,1]
	;; [unrolled: 8-line block ×3, first 2 shown]
	v_mov_b32_e32 v15, v19
	v_pk_fma_f32 v[18:19], v[26:27], v[80:81], v[58:59] op_sel:[0,0,1] op_sel_hi:[1,1,0]
	v_pk_fma_f32 v[26:27], v[26:27], v[80:81], v[58:59] op_sel:[0,0,1] op_sel_hi:[1,0,0] neg_lo:[1,0,0] neg_hi:[1,0,0]
	v_pk_mul_f32 v[110:111], v[10:11], v[48:49] op_sel_hi:[1,0]
	v_mov_b32_e32 v19, v27
	v_pk_fma_f32 v[26:27], v[2:3], v[44:45], v[108:109] op_sel:[0,0,1] op_sel_hi:[1,1,0]
	v_pk_fma_f32 v[2:3], v[2:3], v[44:45], v[108:109] op_sel:[0,0,1] op_sel_hi:[1,0,0] neg_lo:[1,0,0] neg_hi:[1,0,0]
	v_pk_add_f32 v[20:21], v[114:115], v[20:21] neg_lo:[0,1] neg_hi:[0,1]
	v_pk_add_f32 v[4:5], v[28:29], v[4:5] neg_lo:[0,1] neg_hi:[0,1]
	v_pk_add_f32 v[16:17], v[42:43], v[16:17] neg_lo:[0,1] neg_hi:[0,1]
	v_mov_b32_e32 v27, v3
	v_pk_fma_f32 v[2:3], v[10:11], v[40:41], v[110:111] op_sel:[0,0,1] op_sel_hi:[1,1,0]
	v_pk_fma_f32 v[10:11], v[10:11], v[40:41], v[110:111] op_sel:[0,0,1] op_sel_hi:[1,0,0] neg_lo:[1,0,0] neg_hi:[1,0,0]
	v_pk_add_f32 v[8:9], v[12:13], v[8:9] neg_lo:[0,1] neg_hi:[0,1]
	v_mov_b32_e32 v3, v11
	v_pk_fma_f32 v[10:11], v[28:29], 2.0, v[4:5] op_sel_hi:[1,0,1] neg_lo:[0,0,1] neg_hi:[0,0,1]
	v_pk_fma_f32 v[28:29], v[114:115], 2.0, v[20:21] op_sel_hi:[1,0,1] neg_lo:[0,0,1] neg_hi:[0,0,1]
	;; [unrolled: 1-line block ×3, first 2 shown]
	v_pk_add_f32 v[42:43], v[4:5], v[20:21] op_sel:[0,1] op_sel_hi:[1,0]
	v_pk_add_f32 v[20:21], v[4:5], v[20:21] op_sel:[0,1] op_sel_hi:[1,0] neg_lo:[0,1] neg_hi:[0,1]
	v_pk_add_f32 v[22:23], v[24:25], v[22:23] neg_lo:[0,1] neg_hi:[0,1]
	v_pk_add_f32 v[6:7], v[38:39], v[6:7] neg_lo:[0,1] neg_hi:[0,1]
	v_pk_fma_f32 v[12:13], v[12:13], 2.0, v[8:9] op_sel_hi:[1,0,1] neg_lo:[0,0,1] neg_hi:[0,0,1]
	v_mov_b32_e32 v43, v21
	v_pk_add_f32 v[20:21], v[16:17], v[8:9] op_sel:[0,1] op_sel_hi:[1,0]
	v_pk_add_f32 v[8:9], v[16:17], v[8:9] op_sel:[0,1] op_sel_hi:[1,0] neg_lo:[0,1] neg_hi:[0,1]
	v_pk_add_f32 v[18:19], v[14:15], v[18:19] neg_lo:[0,1] neg_hi:[0,1]
	v_pk_add_f32 v[2:3], v[26:27], v[2:3] neg_lo:[0,1] neg_hi:[0,1]
	v_pk_fma_f32 v[24:25], v[24:25], 2.0, v[22:23] op_sel_hi:[1,0,1] neg_lo:[0,0,1] neg_hi:[0,0,1]
	v_mov_b32_e32 v21, v9
	v_pk_add_f32 v[8:9], v[6:7], v[22:23] op_sel:[0,1] op_sel_hi:[1,0]
	v_pk_add_f32 v[22:23], v[6:7], v[22:23] op_sel:[0,1] op_sel_hi:[1,0] neg_lo:[0,1] neg_hi:[0,1]
	s_movk_i32 s2, 0x700
	v_pk_fma_f32 v[14:15], v[14:15], 2.0, v[18:19] op_sel_hi:[1,0,1] neg_lo:[0,0,1] neg_hi:[0,0,1]
	v_mov_b32_e32 v9, v23
	v_pk_add_f32 v[22:23], v[2:3], v[18:19] op_sel:[0,1] op_sel_hi:[1,0]
	v_pk_add_f32 v[18:19], v[2:3], v[18:19] op_sel:[0,1] op_sel_hi:[1,0] neg_lo:[0,1] neg_hi:[0,1]
	v_and_or_b32 v1, v95, s2, v73
	v_mov_b32_e32 v23, v19
	v_pk_fma_f32 v[4:5], v[4:5], 2.0, v[42:43] op_sel_hi:[1,0,1] neg_lo:[0,0,1] neg_hi:[0,0,1]
	s_mov_b32 s2, 0x3f3504f3
	v_pk_fma_f32 v[16:17], v[16:17], 2.0, v[20:21] op_sel_hi:[1,0,1] neg_lo:[0,0,1] neg_hi:[0,0,1]
	v_pk_fma_f32 v[38:39], v[38:39], 2.0, v[6:7] op_sel_hi:[1,0,1] neg_lo:[0,0,1] neg_hi:[0,0,1]
	;; [unrolled: 1-line block ×3, first 2 shown]
	v_pk_mul_f32 v[18:19], v[4:5], s[2:3] op_sel_hi:[1,0]
	v_pk_fma_f32 v[4:5], v[4:5], s[2:3], v[16:17] op_sel_hi:[1,0,1] neg_lo:[1,0,0] neg_hi:[1,0,0]
	v_pk_fma_f32 v[6:7], v[6:7], 2.0, v[8:9] op_sel_hi:[1,0,1] neg_lo:[0,0,1] neg_hi:[0,0,1]
	v_pk_fma_f32 v[2:3], v[2:3], 2.0, v[22:23] op_sel_hi:[1,0,1] neg_lo:[0,0,1] neg_hi:[0,0,1]
	v_pk_add_f32 v[44:45], v[4:5], v[18:19] op_sel:[0,1] op_sel_hi:[1,0]
	v_pk_add_f32 v[4:5], v[4:5], v[18:19] op_sel:[0,1] op_sel_hi:[1,0] neg_lo:[0,1] neg_hi:[0,1]
	v_pk_mul_f32 v[18:19], v[6:7], s[2:3] op_sel_hi:[1,0]
	v_pk_fma_f32 v[6:7], v[6:7], s[2:3], v[2:3] op_sel_hi:[1,0,1] neg_lo:[1,0,0] neg_hi:[1,0,0]
	v_pk_add_f32 v[28:29], v[10:11], v[28:29] neg_lo:[0,1] neg_hi:[0,1]
	v_pk_add_f32 v[46:47], v[6:7], v[18:19] op_sel:[0,1] op_sel_hi:[1,0]
	v_pk_add_f32 v[6:7], v[6:7], v[18:19] op_sel:[0,1] op_sel_hi:[1,0] neg_lo:[0,1] neg_hi:[0,1]
	v_pk_add_f32 v[12:13], v[40:41], v[12:13] neg_lo:[0,1] neg_hi:[0,1]
	v_pk_add_f32 v[24:25], v[38:39], v[24:25] neg_lo:[0,1] neg_hi:[0,1]
	;; [unrolled: 1-line block ×3, first 2 shown]
	v_mov_b32_e32 v45, v5
	v_mov_b32_e32 v47, v7
	v_fmamk_f32 v18, v46, 0x3ec3ef15, v44
	v_pk_fma_f32 v[40:41], v[40:41], 2.0, v[12:13] op_sel_hi:[1,0,1] neg_lo:[0,0,1] neg_hi:[0,0,1]
	v_pk_fma_f32 v[10:11], v[10:11], 2.0, v[28:29] op_sel_hi:[1,0,1] neg_lo:[0,0,1] neg_hi:[0,0,1]
	;; [unrolled: 1-line block ×4, first 2 shown]
	v_fmamk_f32 v4, v7, 0x3ec3ef15, v5
	v_fmac_f32_e32 v18, 0x3f6c835e, v7
	v_pk_fma_f32 v[2:3], v[2:3], 2.0, v[46:47] op_sel_hi:[1,0,1] neg_lo:[0,0,1] neg_hi:[0,0,1]
	v_pk_fma_f32 v[6:7], v[16:17], 2.0, v[44:45] op_sel_hi:[1,0,1] neg_lo:[0,0,1] neg_hi:[0,0,1]
	v_pk_add_f32 v[10:11], v[40:41], v[10:11] neg_lo:[0,1] neg_hi:[0,1]
	v_pk_add_f32 v[38:39], v[26:27], v[38:39] neg_lo:[0,1] neg_hi:[0,1]
	v_pk_mul_f32 v[16:17], v[2:3], s[8:9] op_sel_hi:[1,0]
	v_pk_fma_f32 v[2:3], v[2:3], s[10:11], v[6:7] op_sel_hi:[1,0,1] neg_lo:[1,0,0] neg_hi:[1,0,0]
	v_pk_fma_f32 v[40:41], v[40:41], 2.0, v[10:11] op_sel_hi:[1,0,1] neg_lo:[0,0,1] neg_hi:[0,0,1]
	v_pk_fma_f32 v[26:27], v[26:27], 2.0, v[38:39] op_sel_hi:[1,0,1] neg_lo:[0,0,1] neg_hi:[0,0,1]
	v_fmamk_f32 v19, v46, 0xbf6c835e, v4
	v_fma_f32 v4, v44, 2.0, -v18
	v_pk_add_f32 v[44:45], v[2:3], v[16:17] op_sel:[0,1] op_sel_hi:[1,0]
	v_pk_add_f32 v[2:3], v[2:3], v[16:17] op_sel:[0,1] op_sel_hi:[1,0] neg_lo:[0,1] neg_hi:[0,1]
	v_pk_add_f32 v[26:27], v[40:41], v[26:27] neg_lo:[0,1] neg_hi:[0,1]
	v_mov_b32_e32 v45, v3
	v_lshlrev_b32_e32 v1, 3, v1
	v_pk_fma_f32 v[40:41], v[40:41], 2.0, v[26:27] op_sel_hi:[1,0,1] neg_lo:[0,0,1] neg_hi:[0,0,1]
	v_pk_fma_f32 v[2:3], v[6:7], 2.0, v[44:45] op_sel_hi:[1,0,1] neg_lo:[0,0,1] neg_hi:[0,0,1]
	ds_write2_b64 v1, v[40:41], v[2:3] offset1:16
	v_pk_add_f32 v[2:3], v[12:13], v[28:29] op_sel:[0,1] op_sel_hi:[1,0]
	v_pk_add_f32 v[6:7], v[12:13], v[28:29] op_sel:[0,1] op_sel_hi:[1,0] neg_lo:[0,1] neg_hi:[0,1]
	v_pk_add_f32 v[16:17], v[14:15], v[24:25] op_sel:[0,1] op_sel_hi:[1,0] neg_lo:[0,1] neg_hi:[0,1]
	v_mov_b32_e32 v3, v7
	v_pk_add_f32 v[6:7], v[14:15], v[24:25] op_sel:[0,1] op_sel_hi:[1,0]
	v_pk_fma_f32 v[12:13], v[12:13], 2.0, v[2:3] op_sel_hi:[1,0,1] neg_lo:[0,0,1] neg_hi:[0,0,1]
	v_mov_b32_e32 v7, v17
	v_pk_fma_f32 v[14:15], v[14:15], 2.0, v[6:7] op_sel_hi:[1,0,1] neg_lo:[0,0,1] neg_hi:[0,0,1]
	v_fma_f32 v5, v5, 2.0, -v19
	v_pk_mul_f32 v[16:17], v[14:15], s[2:3] op_sel_hi:[1,0]
	v_pk_fma_f32 v[14:15], v[14:15], s[2:3], v[12:13] op_sel_hi:[1,0,1] neg_lo:[1,0,0] neg_hi:[1,0,0]
	s_nop 0
	v_pk_add_f32 v[24:25], v[14:15], v[16:17] op_sel:[0,1] op_sel_hi:[1,0]
	v_pk_add_f32 v[14:15], v[14:15], v[16:17] op_sel:[0,1] op_sel_hi:[1,0] neg_lo:[0,1] neg_hi:[0,1]
	v_pk_fma_f32 v[16:17], v[42:43], s[2:3], v[20:21] op_sel_hi:[1,0,1]
	v_mov_b32_e32 v25, v15
	v_pk_mul_f32 v[14:15], v[42:43], s[2:3] op_sel_hi:[1,0]
	v_pk_fma_f32 v[12:13], v[12:13], 2.0, v[24:25] op_sel_hi:[1,0,1] neg_lo:[0,0,1] neg_hi:[0,0,1]
	v_pk_add_f32 v[28:29], v[16:17], v[14:15] op_sel:[0,1] op_sel_hi:[1,0]
	v_pk_add_f32 v[14:15], v[16:17], v[14:15] op_sel:[0,1] op_sel_hi:[1,0] neg_lo:[0,1] neg_hi:[0,1]
	v_pk_mul_f32 v[16:17], v[8:9], s[2:3] op_sel_hi:[1,0]
	v_pk_fma_f32 v[8:9], v[8:9], s[2:3], v[22:23] op_sel_hi:[1,0,1]
	v_mov_b32_e32 v29, v15
	v_pk_add_f32 v[40:41], v[8:9], v[16:17] op_sel:[0,1] op_sel_hi:[1,0]
	v_pk_add_f32 v[8:9], v[8:9], v[16:17] op_sel:[0,1] op_sel_hi:[1,0] neg_lo:[0,1] neg_hi:[0,1]
	v_fmamk_f32 v16, v40, 0x3f6c835e, v28
	v_mov_b32_e32 v41, v9
	v_fmamk_f32 v8, v9, 0x3f6c835e, v15
	v_fmamk_f32 v17, v40, 0xbec3ef15, v8
	v_fmac_f32_e32 v16, 0x3ec3ef15, v9
	v_pk_fma_f32 v[8:9], v[22:23], 2.0, v[40:41] op_sel_hi:[1,0,1] neg_lo:[0,0,1] neg_hi:[0,0,1]
	v_pk_fma_f32 v[20:21], v[20:21], 2.0, v[28:29] op_sel_hi:[1,0,1] neg_lo:[0,0,1] neg_hi:[0,0,1]
	v_pk_mul_f32 v[22:23], v[8:9], s[10:11] op_sel_hi:[1,0]
	v_pk_fma_f32 v[8:9], v[8:9], s[8:9], v[20:21] op_sel_hi:[1,0,1] neg_lo:[1,0,0] neg_hi:[1,0,0]
	v_fma_f32 v14, v28, 2.0, -v16
	v_pk_add_f32 v[28:29], v[8:9], v[22:23] op_sel:[0,1] op_sel_hi:[1,0]
	v_pk_add_f32 v[8:9], v[8:9], v[22:23] op_sel:[0,1] op_sel_hi:[1,0] neg_lo:[0,1] neg_hi:[0,1]
	v_fma_f32 v15, v15, 2.0, -v17
	v_mov_b32_e32 v29, v9
	v_pk_fma_f32 v[8:9], v[20:21], 2.0, v[28:29] op_sel_hi:[1,0,1] neg_lo:[0,0,1] neg_hi:[0,0,1]
	ds_write2_b64 v1, v[12:13], v[8:9] offset0:32 offset1:48
	v_pk_add_f32 v[8:9], v[10:11], v[38:39] op_sel:[0,1] op_sel_hi:[1,0]
	v_pk_add_f32 v[12:13], v[10:11], v[38:39] op_sel:[0,1] op_sel_hi:[1,0] neg_lo:[0,1] neg_hi:[0,1]
	s_nop 0
	v_mov_b32_e32 v9, v13
	v_pk_fma_f32 v[10:11], v[10:11], 2.0, v[8:9] op_sel_hi:[1,0,1] neg_lo:[0,0,1] neg_hi:[0,0,1]
	ds_write2_b64 v1, v[10:11], v[4:5] offset0:64 offset1:80
	v_pk_mul_f32 v[4:5], v[6:7], s[2:3] op_sel_hi:[1,0]
	v_pk_fma_f32 v[6:7], v[6:7], s[2:3], v[2:3] op_sel_hi:[1,0,1]
	s_nop 0
	v_pk_add_f32 v[10:11], v[6:7], v[4:5] op_sel:[0,1] op_sel_hi:[1,0]
	v_pk_add_f32 v[4:5], v[6:7], v[4:5] op_sel:[0,1] op_sel_hi:[1,0] neg_lo:[0,1] neg_hi:[0,1]
	s_nop 0
	v_mov_b32_e32 v11, v5
	v_pk_fma_f32 v[2:3], v[2:3], 2.0, v[10:11] op_sel_hi:[1,0,1] neg_lo:[0,0,1] neg_hi:[0,0,1]
	ds_write2_b64 v1, v[2:3], v[14:15] offset0:96 offset1:112
	ds_write2_b64 v1, v[26:27], v[44:45] offset0:128 offset1:144
	;; [unrolled: 1-line block ×5, first 2 shown]
.LBB0_27:
	s_or_b64 exec, exec, s[0:1]
	s_waitcnt lgkmcnt(0)
	s_barrier
	ds_read2st64_b64 v[2:5], v70 offset1:4
	ds_read2st64_b64 v[6:9], v70 offset0:8 offset1:12
	ds_read2st64_b64 v[10:13], v70 offset0:16 offset1:20
	s_mov_b32 s2, 0x3f5db3d7
	s_mov_b32 s8, 0.5
	s_waitcnt lgkmcnt(2)
	v_pk_mul_f32 v[14:15], v[34:35], v[4:5]
	s_mov_b32 s9, s2
	v_pk_fma_f32 v[16:17], v[88:89], v[4:5], v[14:15] op_sel:[0,0,1] op_sel_hi:[1,1,0]
	v_pk_fma_f32 v[4:5], v[88:89], v[4:5], v[14:15] op_sel:[0,0,1] op_sel_hi:[1,1,0] neg_lo:[0,0,1] neg_hi:[0,0,1]
	s_waitcnt lgkmcnt(1)
	v_pk_mul_f32 v[14:15], v[36:37], v[6:7]
	v_mov_b32_e32 v17, v5
	v_pk_fma_f32 v[18:19], v[86:87], v[6:7], v[14:15] op_sel:[0,0,1] op_sel_hi:[1,1,0]
	v_pk_fma_f32 v[6:7], v[86:87], v[6:7], v[14:15] op_sel:[0,0,1] op_sel_hi:[1,1,0] neg_lo:[0,0,1] neg_hi:[0,0,1]
	v_mov_b32_e32 v4, v16
	v_mov_b32_e32 v19, v7
	v_pk_mul_f32 v[6:7], v[30:31], v[8:9]
	s_mov_b32 s0, -0.5
	v_pk_fma_f32 v[14:15], v[84:85], v[8:9], v[6:7] op_sel:[0,0,1] op_sel_hi:[1,1,0]
	v_pk_fma_f32 v[6:7], v[84:85], v[8:9], v[6:7] op_sel:[0,0,1] op_sel_hi:[1,1,0] neg_lo:[0,0,1] neg_hi:[0,0,1]
	s_mov_b32 s1, s2
	v_mov_b32_e32 v15, v7
	s_waitcnt lgkmcnt(0)
	v_pk_mul_f32 v[6:7], v[32:33], v[10:11]
	s_nop 0
	v_pk_fma_f32 v[8:9], v[64:65], v[10:11], v[6:7] op_sel:[0,0,1] op_sel_hi:[1,1,0]
	v_pk_fma_f32 v[6:7], v[64:65], v[10:11], v[6:7] op_sel:[0,0,1] op_sel_hi:[1,1,0] neg_lo:[0,0,1] neg_hi:[0,0,1]
	s_nop 0
	v_mov_b32_e32 v9, v7
	v_pk_mul_f32 v[6:7], v[76:77], v[12:13]
	s_nop 0
	v_pk_fma_f32 v[10:11], v[60:61], v[12:13], v[6:7] op_sel:[0,0,1] op_sel_hi:[1,1,0]
	v_pk_fma_f32 v[6:7], v[60:61], v[12:13], v[6:7] op_sel:[0,0,1] op_sel_hi:[1,1,0] neg_lo:[0,0,1] neg_hi:[0,0,1]
	s_nop 0
	v_mov_b32_e32 v11, v7
	v_pk_add_f32 v[12:13], v[14:15], v[10:11]
	v_pk_add_f32 v[6:7], v[2:3], v[18:19]
	v_fmac_f32_e32 v4, -0.5, v12
	v_pk_add_f32 v[20:21], v[14:15], v[10:11] neg_lo:[0,1] neg_hi:[0,1]
	v_pk_add_f32 v[14:15], v[16:17], v[14:15]
	v_fmac_f32_e32 v5, -0.5, v13
	v_pk_add_f32 v[6:7], v[6:7], v[8:9]
	v_fmamk_f32 v12, v21, 0xbf5db3d7, v4
	v_fmac_f32_e32 v4, 0x3f5db3d7, v21
	v_pk_add_f32 v[10:11], v[14:15], v[10:11]
	v_fmamk_f32 v14, v20, 0x3f5db3d7, v5
	v_fmac_f32_e32 v5, 0xbf5db3d7, v20
	v_pk_add_f32 v[20:21], v[18:19], v[8:9]
	v_pk_add_f32 v[8:9], v[18:19], v[8:9] neg_lo:[0,1] neg_hi:[0,1]
	v_pk_fma_f32 v[2:3], -0.5, v[20:21], v[2:3] op_sel_hi:[0,1,1]
	v_pk_mul_f32 v[8:9], v[8:9], s[2:3] op_sel_hi:[1,0]
	s_mov_b32 s3, s8
	v_pk_mul_f32 v[14:15], v[14:15], s[2:3] op_sel_hi:[0,1]
	v_pk_add_f32 v[18:19], v[2:3], v[8:9] op_sel:[0,1] op_sel_hi:[1,0] neg_lo:[0,1] neg_hi:[0,1]
	v_pk_add_f32 v[2:3], v[2:3], v[8:9] op_sel:[0,1] op_sel_hi:[1,0]
	v_pk_fma_f32 v[20:21], v[12:13], s[8:9], v[14:15] neg_lo:[0,0,1] neg_hi:[0,0,1]
	v_pk_fma_f32 v[12:13], v[12:13], s[8:9], v[14:15] op_sel_hi:[0,1,1]
	v_mov_b32_e32 v8, v18
	v_mov_b32_e32 v9, v3
	;; [unrolled: 1-line block ×3, first 2 shown]
	v_pk_add_f32 v[16:17], v[6:7], v[10:11]
	v_pk_add_f32 v[12:13], v[8:9], v[20:21]
	ds_write2st64_b64 v70, v[16:17], v[12:13] offset1:4
	v_mov_b32_e32 v12, v5
	v_pk_mul_f32 v[12:13], v[12:13], s[2:3] op_sel_hi:[0,1]
	v_pk_fma_f32 v[4:5], v[4:5], s[0:1], v[12:13] op_sel_hi:[0,1,1] neg_lo:[0,0,1] neg_hi:[0,0,1]
	v_mov_b32_e32 v3, v19
	v_pk_add_f32 v[12:13], v[2:3], v[4:5]
	v_pk_add_f32 v[6:7], v[6:7], v[10:11] neg_lo:[0,1] neg_hi:[0,1]
	ds_write2st64_b64 v70, v[12:13], v[6:7] offset0:8 offset1:12
	v_pk_add_f32 v[6:7], v[8:9], v[20:21] neg_lo:[0,1] neg_hi:[0,1]
	v_pk_add_f32 v[2:3], v[2:3], v[4:5] neg_lo:[0,1] neg_hi:[0,1]
	ds_write2st64_b64 v70, v[6:7], v[2:3] offset0:16 offset1:20
	s_waitcnt lgkmcnt(0)
	s_barrier
	s_and_b64 exec, exec, vcc
	s_cbranch_execz .LBB0_29
; %bb.28:
	global_load_dwordx2 v[2:3], v70, s[12:13]
	global_load_dwordx2 v[4:5], v70, s[12:13] offset:768
	global_load_dwordx2 v[8:9], v70, s[12:13] offset:1536
	;; [unrolled: 1-line block ×3, first 2 shown]
	ds_read2_b64 v[12:15], v70 offset1:96
	global_load_dwordx2 v[10:11], v70, s[12:13] offset:3072
	global_load_dwordx2 v[26:27], v70, s[12:13] offset:3840
	v_mov_b32_e32 v71, 0
	v_mad_u64_u32 v[24:25], s[2:3], s4, v0, 0
	v_mad_u64_u32 v[22:23], s[0:1], s6, v72, 0
	s_movk_i32 s3, 0x1000
	v_lshl_add_u64 v[30:31], s[12:13], 0, v[70:71]
	v_add_u32_e32 v1, 0x400, v70
	v_or_b32_e32 v43, 0x480, v0
	v_mov_b32_e32 v28, v23
	v_mov_b32_e32 v32, v25
	v_add_co_u32_e32 v34, vcc, s3, v30
	ds_read2_b64 v[16:19], v1 offset0:64 offset1:160
	v_lshlrev_b32_e32 v1, 3, v43
	v_mad_u64_u32 v[28:29], s[6:7], s7, v72, v[28:29]
	v_mad_u64_u32 v[32:33], s[6:7], s5, v0, v[32:33]
	v_addc_co_u32_e32 v35, vcc, 0, v31, vcc
	global_load_dwordx2 v[36:37], v1, s[12:13]
	v_mov_b32_e32 v23, v28
	v_mov_b32_e32 v25, v32
	global_load_dwordx2 v[28:29], v[34:35], off offset:512
	global_load_dwordx2 v[32:33], v[34:35], off offset:1280
	v_mov_b32_e32 v20, s14
	v_mov_b32_e32 v21, s15
	v_lshl_add_u64 v[20:21], v[22:23], 3, v[20:21]
	s_mov_b32 s0, 0x55555555
	v_mov_b32_e32 v42, 0x300
	v_lshl_add_u64 v[22:23], v[24:25], 3, v[20:21]
	s_mov_b32 s1, 0x3f455555
	s_mul_i32 s2, s5, 0x300
	v_mad_u64_u32 v[24:25], s[6:7], s4, v42, v[22:23]
	v_add_u32_e32 v25, s2, v25
	v_mad_u64_u32 v[38:39], s[6:7], s4, v42, v[24:25]
	v_add_u32_e32 v39, s2, v39
	s_movk_i32 s3, 0x2000
	s_waitcnt vmcnt(8) lgkmcnt(1)
	v_mul_f32_e32 v1, v13, v3
	v_mul_f32_e32 v3, v12, v3
	s_waitcnt vmcnt(7)
	v_mul_f32_e32 v40, v15, v5
	v_mul_f32_e32 v5, v14, v5
	s_waitcnt vmcnt(6) lgkmcnt(0)
	v_mul_f32_e32 v41, v17, v9
	v_mul_f32_e32 v9, v16, v9
	v_fmac_f32_e32 v1, v12, v2
	v_fma_f32 v12, v2, v13, -v3
	v_fmac_f32_e32 v40, v14, v4
	v_fma_f32 v13, v4, v15, -v5
	v_fmac_f32_e32 v41, v16, v8
	v_fma_f32 v16, v8, v17, -v9
	v_cvt_f64_f32_e32 v[2:3], v1
	v_cvt_f64_f32_e32 v[4:5], v12
	s_waitcnt vmcnt(5)
	v_mul_f32_e32 v44, v19, v7
	v_mul_f32_e32 v7, v18, v7
	v_cvt_f64_f32_e32 v[8:9], v40
	v_cvt_f64_f32_e32 v[12:13], v13
	;; [unrolled: 1-line block ×4, first 2 shown]
	v_mul_f64 v[2:3], v[2:3], s[0:1]
	v_mul_f64 v[4:5], v[4:5], s[0:1]
	;; [unrolled: 1-line block ×6, first 2 shown]
	v_cvt_f32_f64_e32 v2, v[2:3]
	v_cvt_f32_f64_e32 v3, v[4:5]
	v_fma_f32 v1, v6, v19, -v7
	v_cvt_f32_f64_e32 v4, v[8:9]
	v_cvt_f32_f64_e32 v5, v[12:13]
	;; [unrolled: 1-line block ×4, first 2 shown]
	global_store_dwordx2 v[22:23], v[2:3], off
	global_store_dwordx2 v[24:25], v[4:5], off
	;; [unrolled: 1-line block ×3, first 2 shown]
	v_cvt_f64_f32_e32 v[2:3], v1
	v_mul_f64 v[2:3], v[2:3], s[0:1]
	v_add_u32_e32 v1, 0x800, v70
	v_cvt_f32_f64_e32 v13, v[2:3]
	ds_read2_b64 v[2:5], v1 offset0:128 offset1:224
	v_fmac_f32_e32 v44, v18, v6
	v_cvt_f64_f32_e32 v[40:41], v44
	v_mul_f64 v[40:41], v[40:41], s[0:1]
	v_mad_u64_u32 v[8:9], s[6:7], s4, v42, v[38:39]
	v_cvt_f32_f64_e32 v12, v[40:41]
	v_add_u32_e32 v9, s2, v9
	global_load_dwordx2 v[6:7], v94, s[12:13]
	global_load_dwordx2 v[14:15], v[34:35], off offset:3584
	v_mov_b32_e32 v22, 0x600
	global_store_dwordx2 v[8:9], v[12:13], off
	v_or_b32_e32 v13, 0x180, v0
	s_waitcnt vmcnt(10) lgkmcnt(0)
	v_mul_f32_e32 v0, v3, v11
	v_fmac_f32_e32 v0, v2, v10
	v_cvt_f64_f32_e32 v[0:1], v0
	v_mul_f64 v[0:1], v[0:1], s[0:1]
	v_cvt_f32_f64_e32 v0, v[0:1]
	v_mul_f32_e32 v1, v2, v11
	v_fma_f32 v1, v10, v3, -v1
	global_load_dwordx2 v[10:11], v[34:35], off offset:2816
	v_cvt_f64_f32_e32 v[2:3], v1
	v_mul_f64 v[2:3], v[2:3], s[0:1]
	v_cvt_f32_f64_e32 v1, v[2:3]
	v_mad_u64_u32 v[2:3], s[6:7], s4, v13, 0
	v_mov_b32_e32 v12, v3
	v_mad_u64_u32 v[12:13], s[6:7], s5, v13, v[12:13]
	v_mov_b32_e32 v3, v12
	v_lshl_add_u64 v[2:3], v[2:3], 3, v[20:21]
	global_store_dwordx2 v[2:3], v[0:1], off
	s_waitcnt vmcnt(11)
	v_mul_f32_e32 v0, v5, v27
	v_fmac_f32_e32 v0, v4, v26
	v_cvt_f64_f32_e32 v[0:1], v0
	v_mul_f64 v[0:1], v[0:1], s[0:1]
	v_cvt_f32_f64_e32 v12, v[0:1]
	v_mul_f32_e32 v0, v4, v27
	v_add_co_u32_e32 v4, vcc, s3, v30
	v_fma_f32 v0, v26, v5, -v0
	s_nop 0
	v_addc_co_u32_e32 v5, vcc, 0, v31, vcc
	global_load_dwordx2 v[18:19], v[4:5], off offset:1792
	global_load_dwordx2 v[16:17], v[4:5], off offset:256
	v_cvt_f64_f32_e32 v[0:1], v0
	v_mul_f64 v[0:1], v[0:1], s[0:1]
	v_cvt_f32_f64_e32 v13, v[0:1]
	v_add_u32_e32 v0, 0x1000, v70
	ds_read2_b64 v[0:3], v0 offset0:64 offset1:160
	v_mad_u64_u32 v[8:9], s[6:7], s4, v22, v[8:9]
	s_mul_i32 s3, s5, 0x600
	v_add_u32_e32 v9, s3, v9
	global_store_dwordx2 v[8:9], v[12:13], off
	s_waitcnt vmcnt(12) lgkmcnt(0)
	v_mul_f32_e32 v12, v1, v29
	v_fmac_f32_e32 v12, v0, v28
	v_mul_f32_e32 v0, v0, v29
	v_fma_f32 v0, v28, v1, -v0
	v_cvt_f64_f32_e32 v[12:13], v12
	v_cvt_f64_f32_e32 v[0:1], v0
	v_mul_f64 v[12:13], v[12:13], s[0:1]
	v_mul_f64 v[0:1], v[0:1], s[0:1]
	v_cvt_f32_f64_e32 v12, v[12:13]
	v_cvt_f32_f64_e32 v13, v[0:1]
	s_waitcnt vmcnt(11)
	v_mul_f32_e32 v0, v3, v33
	v_fmac_f32_e32 v0, v2, v32
	v_mad_u64_u32 v[8:9], s[6:7], s4, v42, v[8:9]
	v_cvt_f64_f32_e32 v[0:1], v0
	v_add_u32_e32 v9, s2, v9
	v_mul_f64 v[0:1], v[0:1], s[0:1]
	global_store_dwordx2 v[8:9], v[12:13], off
	v_cvt_f32_f64_e32 v12, v[0:1]
	v_mul_f32_e32 v0, v2, v33
	v_fma_f32 v0, v32, v3, -v0
	v_cvt_f64_f32_e32 v[0:1], v0
	v_mul_f64 v[0:1], v[0:1], s[0:1]
	v_cvt_f32_f64_e32 v13, v[0:1]
	v_add_u32_e32 v0, 0x1800, v70
	ds_read2_b64 v[0:3], v0 offset1:96
	v_mad_u64_u32 v[8:9], s[6:7], s4, v42, v[8:9]
	v_add_u32_e32 v9, s2, v9
	global_store_dwordx2 v[8:9], v[12:13], off
	s_waitcnt vmcnt(9) lgkmcnt(0)
	v_mul_f32_e32 v12, v1, v7
	v_fmac_f32_e32 v12, v0, v6
	v_mul_f32_e32 v0, v0, v7
	v_fma_f32 v0, v6, v1, -v0
	v_cvt_f64_f32_e32 v[12:13], v12
	v_cvt_f64_f32_e32 v[0:1], v0
	v_mul_f64 v[12:13], v[12:13], s[0:1]
	v_mul_f64 v[0:1], v[0:1], s[0:1]
	v_cvt_f32_f64_e32 v12, v[12:13]
	v_cvt_f32_f64_e32 v13, v[0:1]
	v_mad_u64_u32 v[6:7], s[6:7], s4, v42, v[8:9]
	s_waitcnt vmcnt(6)
	v_mul_f32_e32 v0, v3, v11
	v_fmac_f32_e32 v0, v2, v10
	v_cvt_f64_f32_e32 v[0:1], v0
	v_mul_f64 v[0:1], v[0:1], s[0:1]
	v_cvt_f32_f64_e32 v8, v[0:1]
	v_mul_f32_e32 v0, v2, v11
	v_fma_f32 v0, v10, v3, -v0
	v_cvt_f64_f32_e32 v[0:1], v0
	v_mul_f64 v[0:1], v[0:1], s[0:1]
	v_cvt_f32_f64_e32 v9, v[0:1]
	v_add_u32_e32 v0, 0x1c00, v70
	ds_read2_b64 v[0:3], v0 offset0:64 offset1:160
	v_add_u32_e32 v7, s2, v7
	global_store_dwordx2 v[6:7], v[12:13], off
	v_mad_u64_u32 v[6:7], s[6:7], s4, v42, v[6:7]
	v_add_u32_e32 v7, s2, v7
	global_store_dwordx2 v[6:7], v[8:9], off
	s_waitcnt lgkmcnt(0)
	v_mul_f32_e32 v8, v1, v15
	v_fmac_f32_e32 v8, v0, v14
	v_mul_f32_e32 v0, v0, v15
	v_fma_f32 v0, v14, v1, -v0
	v_cvt_f64_f32_e32 v[8:9], v8
	v_cvt_f64_f32_e32 v[0:1], v0
	v_mul_f64 v[8:9], v[8:9], s[0:1]
	v_mul_f64 v[0:1], v[0:1], s[0:1]
	v_cvt_f32_f64_e32 v8, v[8:9]
	v_cvt_f32_f64_e32 v9, v[0:1]
	s_waitcnt vmcnt(5)
	v_mul_f32_e32 v0, v3, v17
	v_fmac_f32_e32 v0, v2, v16
	v_mad_u64_u32 v[6:7], s[6:7], s4, v42, v[6:7]
	v_cvt_f64_f32_e32 v[0:1], v0
	v_add_u32_e32 v7, s2, v7
	v_mul_f64 v[0:1], v[0:1], s[0:1]
	global_store_dwordx2 v[6:7], v[8:9], off
	v_cvt_f32_f64_e32 v8, v[0:1]
	v_mul_f32_e32 v0, v2, v17
	v_fma_f32 v0, v16, v3, -v0
	v_cvt_f64_f32_e32 v[0:1], v0
	v_mul_f64 v[0:1], v[0:1], s[0:1]
	v_cvt_f32_f64_e32 v9, v[0:1]
	v_add_u32_e32 v0, 0x2000, v70
	ds_read2_b64 v[0:3], v0 offset0:128 offset1:224
	v_mad_u64_u32 v[6:7], s[6:7], s4, v42, v[6:7]
	v_add_u32_e32 v7, s2, v7
	global_store_dwordx2 v[6:7], v[8:9], off
	s_waitcnt lgkmcnt(0)
	v_mul_f32_e32 v8, v1, v37
	v_fmac_f32_e32 v8, v0, v36
	v_mul_f32_e32 v0, v0, v37
	v_fma_f32 v0, v36, v1, -v0
	v_cvt_f64_f32_e32 v[8:9], v8
	v_cvt_f64_f32_e32 v[0:1], v0
	v_mul_f64 v[8:9], v[8:9], s[0:1]
	v_mul_f64 v[0:1], v[0:1], s[0:1]
	v_cvt_f32_f64_e32 v8, v[8:9]
	v_cvt_f32_f64_e32 v9, v[0:1]
	v_mad_u64_u32 v[0:1], s[6:7], s4, v43, 0
	v_mov_b32_e32 v10, v1
	v_mad_u64_u32 v[10:11], s[6:7], s5, v43, v[10:11]
	v_mov_b32_e32 v1, v10
	v_lshl_add_u64 v[0:1], v[0:1], 3, v[20:21]
	global_store_dwordx2 v[0:1], v[8:9], off
	v_mul_f32_e32 v0, v3, v19
	v_fmac_f32_e32 v0, v2, v18
	v_cvt_f64_f32_e32 v[0:1], v0
	v_mul_f64 v[0:1], v[0:1], s[0:1]
	v_cvt_f32_f64_e32 v0, v[0:1]
	v_mul_f32_e32 v1, v2, v19
	v_fma_f32 v1, v18, v3, -v1
	v_cvt_f64_f32_e32 v[2:3], v1
	v_mul_f64 v[2:3], v[2:3], s[0:1]
	v_mad_u64_u32 v[6:7], s[6:7], s4, v22, v[6:7]
	v_cvt_f32_f64_e32 v1, v[2:3]
	v_add_u32_e32 v7, s3, v7
	global_store_dwordx2 v[6:7], v[0:1], off
	global_load_dwordx2 v[8:9], v[4:5], off offset:2560
	v_add_u32_e32 v0, 0x2800, v70
	ds_read2_b64 v[0:3], v0 offset0:64 offset1:160
	s_waitcnt vmcnt(0) lgkmcnt(0)
	v_mul_f32_e32 v10, v1, v9
	v_fmac_f32_e32 v10, v0, v8
	v_mul_f32_e32 v0, v0, v9
	v_fma_f32 v0, v8, v1, -v0
	v_cvt_f64_f32_e32 v[10:11], v10
	v_cvt_f64_f32_e32 v[0:1], v0
	v_mul_f64 v[10:11], v[10:11], s[0:1]
	v_mul_f64 v[0:1], v[0:1], s[0:1]
	v_cvt_f32_f64_e32 v10, v[10:11]
	v_cvt_f32_f64_e32 v11, v[0:1]
	v_mad_u64_u32 v[0:1], s[6:7], s4, v42, v[6:7]
	v_add_u32_e32 v1, s2, v1
	global_store_dwordx2 v[0:1], v[10:11], off
	global_load_dwordx2 v[4:5], v[4:5], off offset:3328
	s_waitcnt vmcnt(0)
	v_mul_f32_e32 v6, v3, v5
	v_fmac_f32_e32 v6, v2, v4
	v_mul_f32_e32 v2, v2, v5
	v_fma_f32 v2, v4, v3, -v2
	v_cvt_f64_f32_e32 v[6:7], v6
	v_cvt_f64_f32_e32 v[2:3], v2
	v_mul_f64 v[6:7], v[6:7], s[0:1]
	v_mul_f64 v[2:3], v[2:3], s[0:1]
	v_mad_u64_u32 v[0:1], s[0:1], s4, v42, v[0:1]
	v_cvt_f32_f64_e32 v6, v[6:7]
	v_cvt_f32_f64_e32 v7, v[2:3]
	v_add_u32_e32 v1, s2, v1
	global_store_dwordx2 v[0:1], v[6:7], off
.LBB0_29:
	s_endpgm
	.section	.rodata,"a",@progbits
	.p2align	6, 0x0
	.amdhsa_kernel bluestein_single_back_len1536_dim1_sp_op_CI_CI
		.amdhsa_group_segment_fixed_size 12288
		.amdhsa_private_segment_fixed_size 0
		.amdhsa_kernarg_size 104
		.amdhsa_user_sgpr_count 2
		.amdhsa_user_sgpr_dispatch_ptr 0
		.amdhsa_user_sgpr_queue_ptr 0
		.amdhsa_user_sgpr_kernarg_segment_ptr 1
		.amdhsa_user_sgpr_dispatch_id 0
		.amdhsa_user_sgpr_kernarg_preload_length 0
		.amdhsa_user_sgpr_kernarg_preload_offset 0
		.amdhsa_user_sgpr_private_segment_size 0
		.amdhsa_uses_dynamic_stack 0
		.amdhsa_enable_private_segment 0
		.amdhsa_system_sgpr_workgroup_id_x 1
		.amdhsa_system_sgpr_workgroup_id_y 0
		.amdhsa_system_sgpr_workgroup_id_z 0
		.amdhsa_system_sgpr_workgroup_info 0
		.amdhsa_system_vgpr_workitem_id 0
		.amdhsa_next_free_vgpr 116
		.amdhsa_next_free_sgpr 18
		.amdhsa_accum_offset 116
		.amdhsa_reserve_vcc 1
		.amdhsa_float_round_mode_32 0
		.amdhsa_float_round_mode_16_64 0
		.amdhsa_float_denorm_mode_32 3
		.amdhsa_float_denorm_mode_16_64 3
		.amdhsa_dx10_clamp 1
		.amdhsa_ieee_mode 1
		.amdhsa_fp16_overflow 0
		.amdhsa_tg_split 0
		.amdhsa_exception_fp_ieee_invalid_op 0
		.amdhsa_exception_fp_denorm_src 0
		.amdhsa_exception_fp_ieee_div_zero 0
		.amdhsa_exception_fp_ieee_overflow 0
		.amdhsa_exception_fp_ieee_underflow 0
		.amdhsa_exception_fp_ieee_inexact 0
		.amdhsa_exception_int_div_zero 0
	.end_amdhsa_kernel
	.text
.Lfunc_end0:
	.size	bluestein_single_back_len1536_dim1_sp_op_CI_CI, .Lfunc_end0-bluestein_single_back_len1536_dim1_sp_op_CI_CI
                                        ; -- End function
	.section	.AMDGPU.csdata,"",@progbits
; Kernel info:
; codeLenInByte = 12164
; NumSgprs: 24
; NumVgprs: 116
; NumAgprs: 0
; TotalNumVgprs: 116
; ScratchSize: 0
; MemoryBound: 0
; FloatMode: 240
; IeeeMode: 1
; LDSByteSize: 12288 bytes/workgroup (compile time only)
; SGPRBlocks: 2
; VGPRBlocks: 14
; NumSGPRsForWavesPerEU: 24
; NumVGPRsForWavesPerEU: 116
; AccumOffset: 116
; Occupancy: 4
; WaveLimiterHint : 1
; COMPUTE_PGM_RSRC2:SCRATCH_EN: 0
; COMPUTE_PGM_RSRC2:USER_SGPR: 2
; COMPUTE_PGM_RSRC2:TRAP_HANDLER: 0
; COMPUTE_PGM_RSRC2:TGID_X_EN: 1
; COMPUTE_PGM_RSRC2:TGID_Y_EN: 0
; COMPUTE_PGM_RSRC2:TGID_Z_EN: 0
; COMPUTE_PGM_RSRC2:TIDIG_COMP_CNT: 0
; COMPUTE_PGM_RSRC3_GFX90A:ACCUM_OFFSET: 28
; COMPUTE_PGM_RSRC3_GFX90A:TG_SPLIT: 0
	.text
	.p2alignl 6, 3212836864
	.fill 256, 4, 3212836864
	.type	__hip_cuid_d6f91e54b82b5ffc,@object ; @__hip_cuid_d6f91e54b82b5ffc
	.section	.bss,"aw",@nobits
	.globl	__hip_cuid_d6f91e54b82b5ffc
__hip_cuid_d6f91e54b82b5ffc:
	.byte	0                               ; 0x0
	.size	__hip_cuid_d6f91e54b82b5ffc, 1

	.ident	"AMD clang version 19.0.0git (https://github.com/RadeonOpenCompute/llvm-project roc-6.4.0 25133 c7fe45cf4b819c5991fe208aaa96edf142730f1d)"
	.section	".note.GNU-stack","",@progbits
	.addrsig
	.addrsig_sym __hip_cuid_d6f91e54b82b5ffc
	.amdgpu_metadata
---
amdhsa.kernels:
  - .agpr_count:     0
    .args:
      - .actual_access:  read_only
        .address_space:  global
        .offset:         0
        .size:           8
        .value_kind:     global_buffer
      - .actual_access:  read_only
        .address_space:  global
        .offset:         8
        .size:           8
        .value_kind:     global_buffer
      - .actual_access:  read_only
        .address_space:  global
        .offset:         16
        .size:           8
        .value_kind:     global_buffer
      - .actual_access:  read_only
        .address_space:  global
        .offset:         24
        .size:           8
        .value_kind:     global_buffer
      - .actual_access:  read_only
        .address_space:  global
        .offset:         32
        .size:           8
        .value_kind:     global_buffer
      - .offset:         40
        .size:           8
        .value_kind:     by_value
      - .address_space:  global
        .offset:         48
        .size:           8
        .value_kind:     global_buffer
      - .address_space:  global
        .offset:         56
        .size:           8
        .value_kind:     global_buffer
      - .address_space:  global
        .offset:         64
        .size:           8
        .value_kind:     global_buffer
      - .address_space:  global
        .offset:         72
        .size:           8
        .value_kind:     global_buffer
      - .offset:         80
        .size:           4
        .value_kind:     by_value
      - .address_space:  global
        .offset:         88
        .size:           8
        .value_kind:     global_buffer
      - .address_space:  global
        .offset:         96
        .size:           8
        .value_kind:     global_buffer
    .group_segment_fixed_size: 12288
    .kernarg_segment_align: 8
    .kernarg_segment_size: 104
    .language:       OpenCL C
    .language_version:
      - 2
      - 0
    .max_flat_workgroup_size: 256
    .name:           bluestein_single_back_len1536_dim1_sp_op_CI_CI
    .private_segment_fixed_size: 0
    .sgpr_count:     24
    .sgpr_spill_count: 0
    .symbol:         bluestein_single_back_len1536_dim1_sp_op_CI_CI.kd
    .uniform_work_group_size: 1
    .uses_dynamic_stack: false
    .vgpr_count:     116
    .vgpr_spill_count: 0
    .wavefront_size: 64
amdhsa.target:   amdgcn-amd-amdhsa--gfx950
amdhsa.version:
  - 1
  - 2
...

	.end_amdgpu_metadata
